;; amdgpu-corpus repo=ROCm/rocFFT kind=compiled arch=gfx906 opt=O3
	.text
	.amdgcn_target "amdgcn-amd-amdhsa--gfx906"
	.amdhsa_code_object_version 6
	.protected	fft_rtc_fwd_len1764_factors_2_2_3_3_7_7_wgs_126_tpt_126_halfLds_dp_ip_CI_unitstride_sbrr_R2C_dirReg ; -- Begin function fft_rtc_fwd_len1764_factors_2_2_3_3_7_7_wgs_126_tpt_126_halfLds_dp_ip_CI_unitstride_sbrr_R2C_dirReg
	.globl	fft_rtc_fwd_len1764_factors_2_2_3_3_7_7_wgs_126_tpt_126_halfLds_dp_ip_CI_unitstride_sbrr_R2C_dirReg
	.p2align	8
	.type	fft_rtc_fwd_len1764_factors_2_2_3_3_7_7_wgs_126_tpt_126_halfLds_dp_ip_CI_unitstride_sbrr_R2C_dirReg,@function
fft_rtc_fwd_len1764_factors_2_2_3_3_7_7_wgs_126_tpt_126_halfLds_dp_ip_CI_unitstride_sbrr_R2C_dirReg: ; @fft_rtc_fwd_len1764_factors_2_2_3_3_7_7_wgs_126_tpt_126_halfLds_dp_ip_CI_unitstride_sbrr_R2C_dirReg
; %bb.0:
	s_load_dwordx2 s[2:3], s[4:5], 0x50
	s_load_dwordx4 s[8:11], s[4:5], 0x0
	s_load_dwordx2 s[12:13], s[4:5], 0x18
	v_mul_u32_u24_e32 v1, 0x209, v0
	v_add_u32_sdwa v5, s6, v1 dst_sel:DWORD dst_unused:UNUSED_PAD src0_sel:DWORD src1_sel:WORD_1
	v_mov_b32_e32 v3, 0
	s_waitcnt lgkmcnt(0)
	v_cmp_lt_u64_e64 s[0:1], s[10:11], 2
	v_mov_b32_e32 v1, 0
	v_mov_b32_e32 v6, v3
	s_and_b64 vcc, exec, s[0:1]
	v_mov_b32_e32 v2, 0
	s_cbranch_vccnz .LBB0_8
; %bb.1:
	s_load_dwordx2 s[0:1], s[4:5], 0x10
	s_add_u32 s6, s12, 8
	s_addc_u32 s7, s13, 0
	v_mov_b32_e32 v1, 0
	v_mov_b32_e32 v2, 0
	s_waitcnt lgkmcnt(0)
	s_add_u32 s14, s0, 8
	s_addc_u32 s15, s1, 0
	s_mov_b64 s[16:17], 1
.LBB0_2:                                ; =>This Inner Loop Header: Depth=1
	s_load_dwordx2 s[18:19], s[14:15], 0x0
                                        ; implicit-def: $vgpr7_vgpr8
	s_waitcnt lgkmcnt(0)
	v_or_b32_e32 v4, s19, v6
	v_cmp_ne_u64_e32 vcc, 0, v[3:4]
	s_and_saveexec_b64 s[0:1], vcc
	s_xor_b64 s[20:21], exec, s[0:1]
	s_cbranch_execz .LBB0_4
; %bb.3:                                ;   in Loop: Header=BB0_2 Depth=1
	v_cvt_f32_u32_e32 v4, s18
	v_cvt_f32_u32_e32 v7, s19
	s_sub_u32 s0, 0, s18
	s_subb_u32 s1, 0, s19
	v_mac_f32_e32 v4, 0x4f800000, v7
	v_rcp_f32_e32 v4, v4
	v_mul_f32_e32 v4, 0x5f7ffffc, v4
	v_mul_f32_e32 v7, 0x2f800000, v4
	v_trunc_f32_e32 v7, v7
	v_mac_f32_e32 v4, 0xcf800000, v7
	v_cvt_u32_f32_e32 v7, v7
	v_cvt_u32_f32_e32 v4, v4
	v_mul_lo_u32 v8, s0, v7
	v_mul_hi_u32 v9, s0, v4
	v_mul_lo_u32 v11, s1, v4
	v_mul_lo_u32 v10, s0, v4
	v_add_u32_e32 v8, v9, v8
	v_add_u32_e32 v8, v8, v11
	v_mul_hi_u32 v9, v4, v10
	v_mul_lo_u32 v11, v4, v8
	v_mul_hi_u32 v13, v4, v8
	v_mul_hi_u32 v12, v7, v10
	v_mul_lo_u32 v10, v7, v10
	v_mul_hi_u32 v14, v7, v8
	v_add_co_u32_e32 v9, vcc, v9, v11
	v_addc_co_u32_e32 v11, vcc, 0, v13, vcc
	v_mul_lo_u32 v8, v7, v8
	v_add_co_u32_e32 v9, vcc, v9, v10
	v_addc_co_u32_e32 v9, vcc, v11, v12, vcc
	v_addc_co_u32_e32 v10, vcc, 0, v14, vcc
	v_add_co_u32_e32 v8, vcc, v9, v8
	v_addc_co_u32_e32 v9, vcc, 0, v10, vcc
	v_add_co_u32_e32 v4, vcc, v4, v8
	v_addc_co_u32_e32 v7, vcc, v7, v9, vcc
	v_mul_lo_u32 v8, s0, v7
	v_mul_hi_u32 v9, s0, v4
	v_mul_lo_u32 v10, s1, v4
	v_mul_lo_u32 v11, s0, v4
	v_add_u32_e32 v8, v9, v8
	v_add_u32_e32 v8, v8, v10
	v_mul_lo_u32 v12, v4, v8
	v_mul_hi_u32 v13, v4, v11
	v_mul_hi_u32 v14, v4, v8
	;; [unrolled: 1-line block ×3, first 2 shown]
	v_mul_lo_u32 v11, v7, v11
	v_mul_hi_u32 v9, v7, v8
	v_add_co_u32_e32 v12, vcc, v13, v12
	v_addc_co_u32_e32 v13, vcc, 0, v14, vcc
	v_mul_lo_u32 v8, v7, v8
	v_add_co_u32_e32 v11, vcc, v12, v11
	v_addc_co_u32_e32 v10, vcc, v13, v10, vcc
	v_addc_co_u32_e32 v9, vcc, 0, v9, vcc
	v_add_co_u32_e32 v8, vcc, v10, v8
	v_addc_co_u32_e32 v9, vcc, 0, v9, vcc
	v_add_co_u32_e32 v4, vcc, v4, v8
	v_addc_co_u32_e32 v9, vcc, v7, v9, vcc
	v_mad_u64_u32 v[7:8], s[0:1], v5, v9, 0
	v_mul_hi_u32 v10, v5, v4
	v_add_co_u32_e32 v11, vcc, v10, v7
	v_addc_co_u32_e32 v12, vcc, 0, v8, vcc
	v_mad_u64_u32 v[7:8], s[0:1], v6, v4, 0
	v_mad_u64_u32 v[9:10], s[0:1], v6, v9, 0
	v_add_co_u32_e32 v4, vcc, v11, v7
	v_addc_co_u32_e32 v4, vcc, v12, v8, vcc
	v_addc_co_u32_e32 v7, vcc, 0, v10, vcc
	v_add_co_u32_e32 v4, vcc, v4, v9
	v_addc_co_u32_e32 v9, vcc, 0, v7, vcc
	v_mul_lo_u32 v10, s19, v4
	v_mul_lo_u32 v11, s18, v9
	v_mad_u64_u32 v[7:8], s[0:1], s18, v4, 0
	v_add3_u32 v8, v8, v11, v10
	v_sub_u32_e32 v10, v6, v8
	v_mov_b32_e32 v11, s19
	v_sub_co_u32_e32 v7, vcc, v5, v7
	v_subb_co_u32_e64 v10, s[0:1], v10, v11, vcc
	v_subrev_co_u32_e64 v11, s[0:1], s18, v7
	v_subbrev_co_u32_e64 v10, s[0:1], 0, v10, s[0:1]
	v_cmp_le_u32_e64 s[0:1], s19, v10
	v_cndmask_b32_e64 v12, 0, -1, s[0:1]
	v_cmp_le_u32_e64 s[0:1], s18, v11
	v_cndmask_b32_e64 v11, 0, -1, s[0:1]
	v_cmp_eq_u32_e64 s[0:1], s19, v10
	v_cndmask_b32_e64 v10, v12, v11, s[0:1]
	v_add_co_u32_e64 v11, s[0:1], 2, v4
	v_addc_co_u32_e64 v12, s[0:1], 0, v9, s[0:1]
	v_add_co_u32_e64 v13, s[0:1], 1, v4
	v_addc_co_u32_e64 v14, s[0:1], 0, v9, s[0:1]
	v_subb_co_u32_e32 v8, vcc, v6, v8, vcc
	v_cmp_ne_u32_e64 s[0:1], 0, v10
	v_cmp_le_u32_e32 vcc, s19, v8
	v_cndmask_b32_e64 v10, v14, v12, s[0:1]
	v_cndmask_b32_e64 v12, 0, -1, vcc
	v_cmp_le_u32_e32 vcc, s18, v7
	v_cndmask_b32_e64 v7, 0, -1, vcc
	v_cmp_eq_u32_e32 vcc, s19, v8
	v_cndmask_b32_e32 v7, v12, v7, vcc
	v_cmp_ne_u32_e32 vcc, 0, v7
	v_cndmask_b32_e64 v7, v13, v11, s[0:1]
	v_cndmask_b32_e32 v8, v9, v10, vcc
	v_cndmask_b32_e32 v7, v4, v7, vcc
.LBB0_4:                                ;   in Loop: Header=BB0_2 Depth=1
	s_andn2_saveexec_b64 s[0:1], s[20:21]
	s_cbranch_execz .LBB0_6
; %bb.5:                                ;   in Loop: Header=BB0_2 Depth=1
	v_cvt_f32_u32_e32 v4, s18
	s_sub_i32 s20, 0, s18
	v_rcp_iflag_f32_e32 v4, v4
	v_mul_f32_e32 v4, 0x4f7ffffe, v4
	v_cvt_u32_f32_e32 v4, v4
	v_mul_lo_u32 v7, s20, v4
	v_mul_hi_u32 v7, v4, v7
	v_add_u32_e32 v4, v4, v7
	v_mul_hi_u32 v4, v5, v4
	v_mul_lo_u32 v7, v4, s18
	v_add_u32_e32 v8, 1, v4
	v_sub_u32_e32 v7, v5, v7
	v_subrev_u32_e32 v9, s18, v7
	v_cmp_le_u32_e32 vcc, s18, v7
	v_cndmask_b32_e32 v7, v7, v9, vcc
	v_cndmask_b32_e32 v4, v4, v8, vcc
	v_add_u32_e32 v8, 1, v4
	v_cmp_le_u32_e32 vcc, s18, v7
	v_cndmask_b32_e32 v7, v4, v8, vcc
	v_mov_b32_e32 v8, v3
.LBB0_6:                                ;   in Loop: Header=BB0_2 Depth=1
	s_or_b64 exec, exec, s[0:1]
	v_mul_lo_u32 v4, v8, s18
	v_mul_lo_u32 v11, v7, s19
	v_mad_u64_u32 v[9:10], s[0:1], v7, s18, 0
	s_load_dwordx2 s[0:1], s[6:7], 0x0
	s_add_u32 s16, s16, 1
	v_add3_u32 v4, v10, v11, v4
	v_sub_co_u32_e32 v5, vcc, v5, v9
	v_subb_co_u32_e32 v4, vcc, v6, v4, vcc
	s_waitcnt lgkmcnt(0)
	v_mul_lo_u32 v4, s0, v4
	v_mul_lo_u32 v6, s1, v5
	v_mad_u64_u32 v[1:2], s[0:1], s0, v5, v[1:2]
	s_addc_u32 s17, s17, 0
	s_add_u32 s6, s6, 8
	v_add3_u32 v2, v6, v2, v4
	v_mov_b32_e32 v4, s10
	v_mov_b32_e32 v5, s11
	s_addc_u32 s7, s7, 0
	v_cmp_ge_u64_e32 vcc, s[16:17], v[4:5]
	s_add_u32 s14, s14, 8
	s_addc_u32 s15, s15, 0
	s_cbranch_vccnz .LBB0_9
; %bb.7:                                ;   in Loop: Header=BB0_2 Depth=1
	v_mov_b32_e32 v5, v7
	v_mov_b32_e32 v6, v8
	s_branch .LBB0_2
.LBB0_8:
	v_mov_b32_e32 v8, v6
	v_mov_b32_e32 v7, v5
.LBB0_9:
	s_lshl_b64 s[0:1], s[10:11], 3
	s_add_u32 s0, s12, s0
	s_addc_u32 s1, s13, s1
	s_load_dwordx2 s[6:7], s[0:1], 0x0
	s_load_dwordx2 s[10:11], s[4:5], 0x20
                                        ; implicit-def: $vgpr64
                                        ; implicit-def: $vgpr70
                                        ; implicit-def: $vgpr69
                                        ; implicit-def: $vgpr68
                                        ; implicit-def: $vgpr67
                                        ; implicit-def: $vgpr66
	s_waitcnt lgkmcnt(0)
	v_mad_u64_u32 v[1:2], s[0:1], s6, v7, v[1:2]
	s_mov_b32 s0, 0x2082083
	v_mul_lo_u32 v3, s6, v8
	v_mul_lo_u32 v4, s7, v7
	v_mul_hi_u32 v5, v0, s0
	v_cmp_gt_u64_e64 s[0:1], s[10:11], v[7:8]
	v_cmp_le_u64_e32 vcc, s[10:11], v[7:8]
	v_add3_u32 v2, v4, v2, v3
	v_mul_u32_u24_e32 v3, 0x7e, v5
	v_sub_u32_e32 v60, v0, v3
	s_and_saveexec_b64 s[4:5], vcc
	s_xor_b64 s[4:5], exec, s[4:5]
; %bb.10:
	v_add_u32_e32 v64, 0x7e, v60
	v_add_u32_e32 v70, 0xfc, v60
	;; [unrolled: 1-line block ×6, first 2 shown]
; %bb.11:
	s_or_saveexec_b64 s[4:5], s[4:5]
	v_lshlrev_b64 v[62:63], 4, v[1:2]
	s_xor_b64 exec, exec, s[4:5]
	s_cbranch_execz .LBB0_13
; %bb.12:
	v_mov_b32_e32 v61, 0
	v_mov_b32_e32 v0, s3
	v_add_co_u32_e32 v2, vcc, s2, v62
	v_addc_co_u32_e32 v3, vcc, v0, v63, vcc
	v_lshlrev_b64 v[0:1], 4, v[60:61]
	s_movk_i32 s6, 0x1000
	v_add_co_u32_e32 v47, vcc, v2, v0
	v_addc_co_u32_e32 v48, vcc, v3, v1, vcc
	v_add_co_u32_e32 v24, vcc, s6, v47
	v_addc_co_u32_e32 v25, vcc, 0, v48, vcc
	s_movk_i32 s6, 0x2000
	v_add_co_u32_e32 v32, vcc, s6, v47
	s_movk_i32 s7, 0x3000
	v_addc_co_u32_e32 v33, vcc, 0, v48, vcc
	v_add_co_u32_e32 v40, vcc, s7, v47
	v_addc_co_u32_e32 v41, vcc, 0, v48, vcc
	s_movk_i32 s6, 0x4000
	v_add_co_u32_e32 v49, vcc, s6, v47
	v_addc_co_u32_e32 v50, vcc, 0, v48, vcc
	v_add_co_u32_e32 v56, vcc, 0x5000, v47
	v_addc_co_u32_e32 v57, vcc, 0, v48, vcc
	v_add_co_u32_e32 v58, vcc, 0x6000, v47
	global_load_dwordx4 v[0:3], v[47:48], off
	global_load_dwordx4 v[4:7], v[47:48], off offset:2016
	global_load_dwordx4 v[8:11], v[47:48], off offset:4032
	;; [unrolled: 1-line block ×5, first 2 shown]
	s_nop 0
	global_load_dwordx4 v[24:27], v[32:33], off offset:3904
	global_load_dwordx4 v[28:31], v[40:41], off offset:1824
	s_nop 0
	global_load_dwordx4 v[32:35], v[40:41], off offset:3840
	global_load_dwordx4 v[36:39], v[49:50], off offset:1760
	s_nop 0
	global_load_dwordx4 v[40:43], v[49:50], off offset:3776
	global_load_dwordx4 v[44:47], v[56:57], off offset:1696
	v_addc_co_u32_e32 v59, vcc, 0, v48, vcc
	global_load_dwordx4 v[48:51], v[56:57], off offset:3712
	global_load_dwordx4 v[52:55], v[58:59], off offset:1632
	v_lshl_add_u32 v56, v60, 4, 0
	v_add_u32_e32 v64, 0x7e, v60
	v_add_u32_e32 v70, 0xfc, v60
	;; [unrolled: 1-line block ×6, first 2 shown]
	s_waitcnt vmcnt(13)
	ds_write_b128 v56, v[0:3]
	s_waitcnt vmcnt(12)
	ds_write_b128 v56, v[4:7] offset:2016
	s_waitcnt vmcnt(11)
	ds_write_b128 v56, v[8:11] offset:4032
	;; [unrolled: 2-line block ×13, first 2 shown]
.LBB0_13:
	s_or_b64 exec, exec, s[4:5]
	v_lshlrev_b32_e32 v61, 4, v60
	v_add_u32_e32 v72, 0, v61
	s_waitcnt lgkmcnt(0)
	s_barrier
	ds_read_b128 v[0:3], v72 offset:14112
	ds_read_b128 v[4:7], v72
	ds_read_b128 v[8:11], v72 offset:2016
	ds_read_b128 v[12:15], v72 offset:12096
	;; [unrolled: 1-line block ×10, first 2 shown]
	s_waitcnt lgkmcnt(10)
	v_add_f64 v[0:1], v[4:5], -v[0:1]
	v_add_f64 v[2:3], v[6:7], -v[2:3]
	s_waitcnt lgkmcnt(7)
	v_add_f64 v[16:17], v[8:9], -v[16:17]
	v_add_f64 v[18:19], v[10:11], -v[18:19]
	s_waitcnt lgkmcnt(5)
	v_add_f64 v[20:21], v[24:25], -v[20:21]
	v_add_f64 v[22:23], v[26:27], -v[22:23]
	ds_read_b128 v[48:51], v72 offset:24192
	ds_read_b128 v[52:55], v72 offset:26208
	v_add_u32_e32 v56, v72, v61
	v_fma_f64 v[4:5], v[4:5], 2.0, -v[0:1]
	v_fma_f64 v[6:7], v[6:7], 2.0, -v[2:3]
	s_waitcnt lgkmcnt(0)
	s_barrier
	ds_write_b128 v56, v[4:7]
	ds_write_b128 v56, v[0:3] offset:16
	v_fma_f64 v[0:1], v[8:9], 2.0, -v[16:17]
	v_fma_f64 v[2:3], v[10:11], 2.0, -v[18:19]
	;; [unrolled: 1-line block ×4, first 2 shown]
	v_add_f64 v[8:9], v[28:29], -v[32:33]
	v_add_f64 v[10:11], v[30:31], -v[34:35]
	;; [unrolled: 1-line block ×8, first 2 shown]
	v_fma_f64 v[28:29], v[28:29], 2.0, -v[8:9]
	v_fma_f64 v[30:31], v[30:31], 2.0, -v[10:11]
	;; [unrolled: 1-line block ×8, first 2 shown]
	v_lshl_add_u32 v75, v64, 5, 0
	v_and_b32_e32 v59, 1, v60
	ds_write_b128 v75, v[0:3]
	ds_write_b128 v75, v[16:19] offset:16
	v_lshl_add_u32 v76, v70, 5, 0
	v_lshl_add_u32 v78, v69, 5, 0
	;; [unrolled: 1-line block ×5, first 2 shown]
	v_lshlrev_b32_e32 v0, 4, v59
	ds_write_b128 v76, v[4:7]
	ds_write_b128 v76, v[20:23] offset:16
	ds_write_b128 v78, v[28:31]
	ds_write_b128 v78, v[8:11] offset:16
	;; [unrolled: 2-line block ×5, first 2 shown]
	s_waitcnt lgkmcnt(0)
	s_barrier
	global_load_dwordx4 v[0:3], v0, s[8:9]
	ds_read_b128 v[4:7], v72 offset:14112
	ds_read_b128 v[8:11], v72 offset:16128
	;; [unrolled: 1-line block ×7, first 2 shown]
	ds_read_b128 v[33:36], v72
	v_lshlrev_b32_e32 v65, 4, v67
	v_lshlrev_b32_e32 v77, 4, v64
	;; [unrolled: 1-line block ×6, first 2 shown]
	v_sub_u32_e32 v92, v73, v65
	v_sub_u32_e32 v81, v75, v77
	;; [unrolled: 1-line block ×5, first 2 shown]
	s_movk_i32 s4, 0xfc
	s_movk_i32 s5, 0x5fc
	s_waitcnt vmcnt(0) lgkmcnt(7)
	v_mul_f64 v[37:38], v[6:7], v[2:3]
	v_mul_f64 v[39:40], v[4:5], v[2:3]
	s_waitcnt lgkmcnt(6)
	v_mul_f64 v[41:42], v[10:11], v[2:3]
	v_mul_f64 v[43:44], v[8:9], v[2:3]
	s_waitcnt lgkmcnt(5)
	;; [unrolled: 3-line block ×6, first 2 shown]
	v_mul_f64 v[85:86], v[30:31], v[2:3]
	v_mul_f64 v[87:88], v[28:29], v[2:3]
	v_fma_f64 v[2:3], v[4:5], v[0:1], -v[37:38]
	v_fma_f64 v[4:5], v[6:7], v[0:1], v[39:40]
	v_fma_f64 v[37:38], v[8:9], v[0:1], -v[41:42]
	v_fma_f64 v[39:40], v[10:11], v[0:1], v[43:44]
	;; [unrolled: 2-line block ×4, first 2 shown]
	s_waitcnt lgkmcnt(0)
	v_add_f64 v[2:3], v[33:34], -v[2:3]
	v_add_f64 v[4:5], v[35:36], -v[4:5]
	v_fma_f64 v[49:50], v[20:21], v[0:1], -v[53:54]
	v_fma_f64 v[51:52], v[22:23], v[0:1], v[55:56]
	v_fma_f64 v[53:54], v[24:25], v[0:1], -v[57:58]
	v_fma_f64 v[55:56], v[26:27], v[0:1], v[83:84]
	;; [unrolled: 2-line block ×3, first 2 shown]
	v_fma_f64 v[6:7], v[33:34], 2.0, -v[2:3]
	v_fma_f64 v[8:9], v[35:36], 2.0, -v[4:5]
	v_sub_u32_e32 v0, v71, v79
	ds_read_b128 v[10:13], v92
	ds_read_b128 v[14:17], v0
	;; [unrolled: 1-line block ×6, first 2 shown]
	v_lshlrev_b32_e32 v0, 1, v60
	v_and_or_b32 v0, v0, s4, v59
	v_lshl_add_u32 v0, v0, 4, 0
	s_waitcnt lgkmcnt(1)
	v_add_f64 v[37:38], v[26:27], -v[37:38]
	v_add_f64 v[39:40], v[28:29], -v[39:40]
	s_waitcnt lgkmcnt(0)
	s_barrier
	ds_write_b128 v0, v[6:9]
	ds_write_b128 v0, v[2:5] offset:32
	v_add_f64 v[4:5], v[33:34], -v[41:42]
	v_add_f64 v[6:7], v[35:36], -v[43:44]
	v_fma_f64 v[0:1], v[26:27], 2.0, -v[37:38]
	v_fma_f64 v[2:3], v[28:29], 2.0, -v[39:40]
	s_movk_i32 s4, 0x1fc
	v_lshlrev_b32_e32 v8, 1, v64
	v_add_f64 v[26:27], v[22:23], -v[45:46]
	v_add_f64 v[28:29], v[24:25], -v[47:48]
	v_and_or_b32 v8, v8, s4, v59
	v_lshl_add_u32 v8, v8, 4, 0
	ds_write_b128 v8, v[37:40] offset:32
	ds_write_b128 v8, v[0:3]
	v_fma_f64 v[0:1], v[33:34], 2.0, -v[4:5]
	v_fma_f64 v[2:3], v[35:36], 2.0, -v[6:7]
	;; [unrolled: 1-line block ×4, first 2 shown]
	s_movk_i32 s4, 0x3fc
	v_lshlrev_b32_e32 v8, 1, v70
	v_and_or_b32 v8, v8, s4, v59
	v_lshl_add_u32 v8, v8, 4, 0
	ds_write_b128 v8, v[4:7] offset:32
	ds_write_b128 v8, v[0:3]
	v_add_f64 v[0:1], v[18:19], -v[49:50]
	v_add_f64 v[2:3], v[20:21], -v[51:52]
	v_lshlrev_b32_e32 v4, 1, v69
	v_and_or_b32 v4, v4, s4, v59
	v_lshl_add_u32 v4, v4, 4, 0
	ds_write_b128 v4, v[22:25]
	ds_write_b128 v4, v[26:29] offset:32
	v_add_f64 v[24:25], v[10:11], -v[53:54]
	v_add_f64 v[26:27], v[12:13], -v[55:56]
	v_fma_f64 v[4:5], v[18:19], 2.0, -v[0:1]
	v_fma_f64 v[6:7], v[20:21], 2.0, -v[2:3]
	v_add_f64 v[20:21], v[14:15], -v[57:58]
	v_add_f64 v[22:23], v[16:17], -v[30:31]
	s_movk_i32 s4, 0x7fc
	v_lshlrev_b32_e32 v8, 1, v68
	v_and_or_b32 v8, v8, s4, v59
	v_lshl_add_u32 v18, v8, 4, 0
	v_fma_f64 v[8:9], v[10:11], 2.0, -v[24:25]
	v_fma_f64 v[10:11], v[12:13], 2.0, -v[26:27]
	ds_write_b128 v18, v[4:7]
	v_fma_f64 v[4:5], v[14:15], 2.0, -v[20:21]
	v_fma_f64 v[6:7], v[16:17], 2.0, -v[22:23]
	ds_write_b128 v18, v[0:3] offset:32
	v_lshlrev_b32_e32 v0, 1, v67
	v_and_or_b32 v0, v0, s5, v59
	v_lshl_add_u32 v0, v0, 4, 0
	ds_write_b128 v0, v[8:11]
	ds_write_b128 v0, v[24:27] offset:32
	v_lshlrev_b32_e32 v0, 1, v66
	v_and_or_b32 v0, v0, s4, v59
	v_lshl_add_u32 v0, v0, 4, 0
	ds_write_b128 v0, v[4:7]
	ds_write_b128 v0, v[20:23] offset:32
	s_waitcnt lgkmcnt(0)
	s_barrier
	ds_read_b128 v[8:11], v89
	ds_read_b128 v[0:3], v90
	;; [unrolled: 1-line block ×3, first 2 shown]
	ds_read_b128 v[52:55], v72 offset:9408
	ds_read_b128 v[48:51], v72 offset:11424
	;; [unrolled: 1-line block ×7, first 2 shown]
	ds_read_b128 v[12:15], v81
	ds_read_b128 v[24:27], v72 offset:24864
	v_sub_u32_e32 v33, 0, v74
	s_movk_i32 s4, 0x54
	v_add_u32_e32 v74, v32, v33
	v_cmp_gt_u32_e32 vcc, s4, v60
                                        ; implicit-def: $vgpr34_vgpr35
	s_and_saveexec_b64 s[4:5], vcc
	s_cbranch_execz .LBB0_15
; %bb.14:
	ds_read_b128 v[4:7], v74
	ds_read_b128 v[20:23], v72 offset:17472
	ds_read_b128 v[32:35], v72 offset:26880
.LBB0_15:
	s_or_b64 exec, exec, s[4:5]
	v_sub_u32_e32 v81, 0, v80
	v_sub_u32_e32 v80, 0, v82
	v_and_b32_e32 v82, 3, v60
	v_lshlrev_b32_e32 v91, 5, v82
	global_load_dwordx4 v[83:86], v91, s[8:9] offset:48
	global_load_dwordx4 v[87:90], v91, s[8:9] offset:32
	s_mov_b32 s4, 0xe8584caa
	s_mov_b32 s5, 0x3febb67a
	;; [unrolled: 1-line block ×4, first 2 shown]
	v_sub_u32_e32 v77, 0, v77
	s_waitcnt vmcnt(0) lgkmcnt(8)
	v_mul_f64 v[91:92], v[54:55], v[89:90]
	v_fma_f64 v[95:96], v[52:53], v[87:88], -v[91:92]
	v_mul_f64 v[52:53], v[52:53], v[89:90]
	v_fma_f64 v[97:98], v[54:55], v[87:88], v[52:53]
	s_waitcnt lgkmcnt(3)
	v_mul_f64 v[52:53], v[58:59], v[85:86]
	v_fma_f64 v[99:100], v[56:57], v[83:84], -v[52:53]
	v_mul_f64 v[52:53], v[56:57], v[85:86]
	v_fma_f64 v[57:58], v[58:59], v[83:84], v[52:53]
	v_and_b32_e32 v52, 3, v64
	v_lshlrev_b32_e32 v59, 5, v52
	global_load_dwordx4 v[53:56], v59, s[8:9] offset:48
	global_load_dwordx4 v[91:94], v59, s[8:9] offset:32
	s_waitcnt vmcnt(0)
	v_mul_f64 v[101:102], v[50:51], v[93:94]
	v_fma_f64 v[101:102], v[48:49], v[91:92], -v[101:102]
	v_mul_f64 v[48:49], v[48:49], v[93:94]
	v_fma_f64 v[48:49], v[50:51], v[91:92], v[48:49]
	v_mul_f64 v[50:51], v[46:47], v[55:56]
	v_fma_f64 v[50:51], v[44:45], v[53:54], -v[50:51]
	v_mul_f64 v[44:45], v[44:45], v[55:56]
	v_fma_f64 v[45:46], v[46:47], v[53:54], v[44:45]
	v_mul_f64 v[53:54], v[42:43], v[89:90]
	v_fma_f64 v[53:54], v[40:41], v[87:88], -v[53:54]
	v_mul_f64 v[40:41], v[40:41], v[89:90]
	v_fma_f64 v[55:56], v[42:43], v[87:88], v[40:41]
	v_mul_f64 v[40:41], v[38:39], v[85:86]
	v_fma_f64 v[91:92], v[36:37], v[83:84], -v[40:41]
	v_mul_f64 v[36:37], v[36:37], v[85:86]
	v_fma_f64 v[93:94], v[38:39], v[83:84], v[36:37]
	v_and_b32_e32 v36, 3, v69
	v_lshlrev_b32_e32 v47, 5, v36
	global_load_dwordx4 v[37:40], v47, s[8:9] offset:48
	global_load_dwordx4 v[41:44], v47, s[8:9] offset:32
	s_waitcnt vmcnt(0) lgkmcnt(0)
	s_barrier
	v_mul_f64 v[103:104], v[30:31], v[43:44]
	v_fma_f64 v[103:104], v[28:29], v[41:42], -v[103:104]
	v_mul_f64 v[28:29], v[28:29], v[43:44]
	v_fma_f64 v[105:106], v[30:31], v[41:42], v[28:29]
	v_mul_f64 v[28:29], v[26:27], v[39:40]
	v_add_f64 v[30:31], v[101:102], v[50:51]
	v_fma_f64 v[107:108], v[24:25], v[37:38], -v[28:29]
	v_mul_f64 v[24:25], v[24:25], v[39:40]
	v_add_f64 v[28:29], v[95:96], -v[99:100]
	v_fma_f64 v[30:31], v[30:31], -0.5, v[12:13]
	v_add_f64 v[39:40], v[53:54], v[91:92]
	v_fma_f64 v[109:110], v[26:27], v[37:38], v[24:25]
	v_mul_f64 v[24:25], v[22:23], v[89:90]
	v_add_f64 v[26:27], v[97:98], v[57:58]
	v_add_f64 v[37:38], v[101:102], -v[50:51]
	v_fma_f64 v[111:112], v[20:21], v[87:88], -v[24:25]
	v_mul_f64 v[20:21], v[20:21], v[89:90]
	v_add_f64 v[24:25], v[97:98], -v[57:58]
	v_fma_f64 v[26:27], v[26:27], -0.5, v[18:19]
	v_fma_f64 v[113:114], v[22:23], v[87:88], v[20:21]
	v_mul_f64 v[20:21], v[34:35], v[85:86]
	v_add_f64 v[22:23], v[95:96], v[99:100]
	v_fma_f64 v[115:116], v[32:33], v[83:84], -v[20:21]
	v_mul_f64 v[20:21], v[32:33], v[85:86]
	v_fma_f64 v[22:23], v[22:23], -0.5, v[16:17]
	v_add_f64 v[32:33], v[48:49], -v[45:46]
	v_fma_f64 v[117:118], v[34:35], v[83:84], v[20:21]
	v_add_f64 v[34:35], v[48:49], v[45:46]
	v_add_f64 v[20:21], v[16:17], v[95:96]
	v_fma_f64 v[16:17], v[24:25], s[4:5], v[22:23]
	v_fma_f64 v[24:25], v[24:25], s[6:7], v[22:23]
	v_add_f64 v[22:23], v[18:19], v[97:98]
	v_fma_f64 v[18:19], v[28:29], s[6:7], v[26:27]
	v_fma_f64 v[26:27], v[28:29], s[4:5], v[26:27]
	v_add_f64 v[28:29], v[12:13], v[101:102]
	v_fma_f64 v[34:35], v[34:35], -0.5, v[14:15]
	v_fma_f64 v[12:13], v[32:33], s[4:5], v[30:31]
	v_fma_f64 v[32:33], v[32:33], s[6:7], v[30:31]
	v_add_f64 v[30:31], v[14:15], v[48:49]
	v_add_f64 v[20:21], v[20:21], v[99:100]
	;; [unrolled: 1-line block ×4, first 2 shown]
	v_fma_f64 v[14:15], v[37:38], s[6:7], v[34:35]
	v_fma_f64 v[34:35], v[37:38], s[4:5], v[34:35]
	v_add_f64 v[37:38], v[8:9], v[53:54]
	v_fma_f64 v[8:9], v[39:40], -0.5, v[8:9]
	v_add_f64 v[39:40], v[55:56], -v[93:94]
	v_add_f64 v[30:31], v[30:31], v[45:46]
	v_add_f64 v[49:50], v[111:112], -v[115:116]
	v_add_f64 v[37:38], v[37:38], v[91:92]
	v_fma_f64 v[41:42], v[39:40], s[4:5], v[8:9]
	v_fma_f64 v[45:46], v[39:40], s[6:7], v[8:9]
	v_add_f64 v[8:9], v[10:11], v[55:56]
	v_add_f64 v[39:40], v[8:9], v[93:94]
	;; [unrolled: 1-line block ×3, first 2 shown]
	v_fma_f64 v[8:9], v[8:9], -0.5, v[10:11]
	v_add_f64 v[10:11], v[53:54], -v[91:92]
	v_fma_f64 v[43:44], v[10:11], s[6:7], v[8:9]
	v_fma_f64 v[47:48], v[10:11], s[4:5], v[8:9]
	v_add_f64 v[8:9], v[0:1], v[103:104]
	v_add_f64 v[10:11], v[113:114], v[117:118]
	;; [unrolled: 1-line block ×4, first 2 shown]
	v_fma_f64 v[10:11], v[10:11], -0.5, v[6:7]
	v_fma_f64 v[0:1], v[8:9], -0.5, v[0:1]
	v_add_f64 v[8:9], v[105:106], -v[109:110]
	v_fma_f64 v[83:84], v[8:9], s[4:5], v[0:1]
	v_fma_f64 v[87:88], v[8:9], s[6:7], v[0:1]
	v_add_f64 v[0:1], v[2:3], v[105:106]
	v_add_f64 v[8:9], v[113:114], -v[117:118]
	v_add_f64 v[55:56], v[0:1], v[109:110]
	v_add_f64 v[0:1], v[105:106], v[109:110]
	v_fma_f64 v[0:1], v[0:1], -0.5, v[2:3]
	v_add_f64 v[2:3], v[103:104], -v[107:108]
	v_fma_f64 v[85:86], v[2:3], s[6:7], v[0:1]
	v_fma_f64 v[89:90], v[2:3], s[4:5], v[0:1]
	v_add_f64 v[2:3], v[111:112], v[115:116]
	v_add_f64 v[0:1], v[4:5], v[111:112]
	v_fma_f64 v[2:3], v[2:3], -0.5, v[4:5]
	v_add_f64 v[0:1], v[0:1], v[115:116]
	v_fma_f64 v[4:5], v[8:9], s[4:5], v[2:3]
	v_fma_f64 v[8:9], v[8:9], s[6:7], v[2:3]
	v_add_f64 v[2:3], v[6:7], v[113:114]
	v_fma_f64 v[6:7], v[49:50], s[6:7], v[10:11]
	v_fma_f64 v[10:11], v[49:50], s[4:5], v[10:11]
	v_lshrrev_b32_e32 v49, 2, v60
	v_mul_u32_u24_e32 v49, 12, v49
	v_or_b32_e32 v49, v49, v82
	v_lshl_add_u32 v49, v49, 4, 0
	ds_write_b128 v49, v[20:23]
	ds_write_b128 v49, v[16:19] offset:64
	ds_write_b128 v49, v[24:27] offset:128
	v_lshrrev_b32_e32 v16, 2, v64
	v_mul_lo_u32 v16, v16, 12
	v_add_f64 v[2:3], v[2:3], v[117:118]
	v_or_b32_e32 v16, v16, v52
	v_lshl_add_u32 v16, v16, 4, 0
	ds_write_b128 v16, v[28:31]
	ds_write_b128 v16, v[12:15] offset:64
	ds_write_b128 v16, v[32:35] offset:128
	v_lshrrev_b32_e32 v12, 2, v70
	v_mul_lo_u32 v12, v12, 12
	v_or_b32_e32 v12, v12, v82
	v_lshl_add_u32 v12, v12, 4, 0
	ds_write_b128 v12, v[37:40]
	ds_write_b128 v12, v[41:44] offset:64
	ds_write_b128 v12, v[45:48] offset:128
	v_lshrrev_b32_e32 v12, 2, v69
	v_mul_lo_u32 v12, v12, 12
	v_or_b32_e32 v12, v12, v36
	v_lshl_add_u32 v12, v12, 4, 0
	ds_write_b128 v12, v[53:56]
	ds_write_b128 v12, v[83:86] offset:64
	ds_write_b128 v12, v[87:90] offset:128
	s_and_saveexec_b64 s[4:5], vcc
	s_cbranch_execz .LBB0_17
; %bb.16:
	v_lshrrev_b32_e32 v12, 2, v68
	v_mul_lo_u32 v12, v12, 12
	v_or_b32_e32 v12, v12, v82
	v_lshl_add_u32 v12, v12, 4, 0
	ds_write_b128 v12, v[0:3]
	ds_write_b128 v12, v[4:7] offset:64
	ds_write_b128 v12, v[8:11] offset:128
.LBB0_17:
	s_or_b64 exec, exec, s[4:5]
	v_add_u32_e32 v76, v76, v81
	s_waitcnt lgkmcnt(0)
	s_barrier
	ds_read_b128 v[24:27], v72
	ds_read_b128 v[52:55], v72 offset:9408
	v_add_u32_e32 v77, v75, v77
	ds_read_b128 v[48:51], v72 offset:11424
	ds_read_b128 v[40:43], v72 offset:13440
	;; [unrolled: 1-line block ×4, first 2 shown]
	v_add_u32_e32 v75, v78, v80
	ds_read_b128 v[16:19], v76
	ds_read_b128 v[12:15], v75
	ds_read_b128 v[56:59], v72 offset:18816
	ds_read_b128 v[32:35], v72 offset:15456
	ds_read_b128 v[20:23], v77
	ds_read_b128 v[28:31], v72 offset:24864
	s_and_saveexec_b64 s[4:5], vcc
	s_cbranch_execz .LBB0_19
; %bb.18:
	ds_read_b128 v[0:3], v74
	ds_read_b128 v[4:7], v72 offset:17472
	ds_read_b128 v[8:11], v72 offset:26880
.LBB0_19:
	s_or_b64 exec, exec, s[4:5]
	s_movk_i32 s4, 0xab
	v_sub_u32_e32 v78, 0, v79
	v_mul_lo_u16_sdwa v79, v60, s4 dst_sel:DWORD dst_unused:UNUSED_PAD src0_sel:BYTE_0 src1_sel:DWORD
	v_lshrrev_b16_e32 v103, 11, v79
	v_mul_lo_u16_e32 v79, 12, v103
	v_sub_u16_e32 v104, v60, v79
	v_mov_b32_e32 v89, 5
	v_lshlrev_b32_sdwa v87, v89, v104 dst_sel:DWORD dst_unused:UNUSED_PAD src0_sel:DWORD src1_sel:BYTE_0
	global_load_dwordx4 v[79:82], v87, s[8:9] offset:176
	global_load_dwordx4 v[83:86], v87, s[8:9] offset:160
	s_mov_b32 s12, 0xaaab
	s_waitcnt vmcnt(0) lgkmcnt(10)
	v_mul_f64 v[87:88], v[54:55], v[85:86]
	v_fma_f64 v[87:88], v[52:53], v[83:84], -v[87:88]
	v_mul_f64 v[52:53], v[52:53], v[85:86]
	v_fma_f64 v[83:84], v[54:55], v[83:84], v[52:53]
	s_waitcnt lgkmcnt(3)
	v_mul_f64 v[52:53], v[58:59], v[81:82]
	v_fma_f64 v[85:86], v[56:57], v[79:80], -v[52:53]
	v_mul_f64 v[52:53], v[56:57], v[81:82]
	v_fma_f64 v[79:80], v[58:59], v[79:80], v[52:53]
	v_mul_lo_u16_sdwa v52, v64, s4 dst_sel:DWORD dst_unused:UNUSED_PAD src0_sel:BYTE_0 src1_sel:DWORD
	v_lshrrev_b16_e32 v105, 11, v52
	v_mul_lo_u16_e32 v52, 12, v105
	v_sub_u16_e32 v106, v64, v52
	v_lshlrev_b32_sdwa v81, v89, v106 dst_sel:DWORD dst_unused:UNUSED_PAD src0_sel:DWORD src1_sel:BYTE_0
	global_load_dwordx4 v[52:55], v81, s[8:9] offset:176
	global_load_dwordx4 v[56:59], v81, s[8:9] offset:160
	s_mov_b32 s4, 0xe8584caa
	s_mov_b32 s5, 0x3febb67a
	;; [unrolled: 1-line block ×3, first 2 shown]
	s_waitcnt vmcnt(0)
	v_mul_f64 v[81:82], v[50:51], v[58:59]
	v_fma_f64 v[81:82], v[48:49], v[56:57], -v[81:82]
	v_mul_f64 v[48:49], v[48:49], v[58:59]
	v_fma_f64 v[56:57], v[50:51], v[56:57], v[48:49]
	v_mul_f64 v[48:49], v[46:47], v[54:55]
	v_fma_f64 v[58:59], v[44:45], v[52:53], -v[48:49]
	v_mul_f64 v[44:45], v[44:45], v[54:55]
	v_fma_f64 v[52:53], v[46:47], v[52:53], v[44:45]
	v_mul_u32_u24_sdwa v44, v70, s12 dst_sel:DWORD dst_unused:UNUSED_PAD src0_sel:WORD_0 src1_sel:DWORD
	v_lshrrev_b32_e32 v107, 19, v44
	v_mul_lo_u16_e32 v44, 12, v107
	v_sub_u16_e32 v108, v70, v44
	v_lshlrev_b32_e32 v54, 5, v108
	global_load_dwordx4 v[44:47], v54, s[8:9] offset:176
	global_load_dwordx4 v[48:51], v54, s[8:9] offset:160
	s_waitcnt vmcnt(0)
	v_mul_f64 v[54:55], v[42:43], v[50:51]
	v_fma_f64 v[54:55], v[40:41], v[48:49], -v[54:55]
	v_mul_f64 v[40:41], v[40:41], v[50:51]
	v_fma_f64 v[89:90], v[42:43], v[48:49], v[40:41]
	v_mul_f64 v[40:41], v[38:39], v[46:47]
	v_fma_f64 v[91:92], v[36:37], v[44:45], -v[40:41]
	v_mul_f64 v[36:37], v[36:37], v[46:47]
	v_fma_f64 v[93:94], v[38:39], v[44:45], v[36:37]
	v_mul_u32_u24_sdwa v36, v69, s12 dst_sel:DWORD dst_unused:UNUSED_PAD src0_sel:WORD_0 src1_sel:DWORD
	v_lshrrev_b32_e32 v109, 19, v36
	v_mul_lo_u16_e32 v36, 12, v109
	v_sub_u16_e32 v110, v69, v36
	v_lshlrev_b32_e32 v44, 5, v110
	global_load_dwordx4 v[36:39], v44, s[8:9] offset:176
	global_load_dwordx4 v[40:43], v44, s[8:9] offset:160
	s_waitcnt vmcnt(0) lgkmcnt(0)
	s_barrier
	v_mul_f64 v[44:45], v[34:35], v[42:43]
	v_fma_f64 v[95:96], v[32:33], v[40:41], -v[44:45]
	v_mul_f64 v[32:33], v[32:33], v[42:43]
	v_fma_f64 v[97:98], v[34:35], v[40:41], v[32:33]
	v_mul_f64 v[32:33], v[30:31], v[38:39]
	v_fma_f64 v[99:100], v[28:29], v[36:37], -v[32:33]
	v_mul_f64 v[28:29], v[28:29], v[38:39]
	v_fma_f64 v[101:102], v[30:31], v[36:37], v[28:29]
	v_add_f64 v[30:31], v[87:88], v[85:86]
	v_add_f64 v[28:29], v[24:25], v[87:88]
	v_fma_f64 v[24:25], v[30:31], -0.5, v[24:25]
	v_add_f64 v[30:31], v[83:84], -v[79:80]
	v_add_f64 v[28:29], v[28:29], v[85:86]
	v_fma_f64 v[32:33], v[30:31], s[4:5], v[24:25]
	v_fma_f64 v[36:37], v[30:31], s[6:7], v[24:25]
	v_add_f64 v[24:25], v[26:27], v[83:84]
	v_add_f64 v[30:31], v[24:25], v[79:80]
	;; [unrolled: 1-line block ×3, first 2 shown]
	v_fma_f64 v[24:25], v[24:25], -0.5, v[26:27]
	v_add_f64 v[26:27], v[87:88], -v[85:86]
	v_fma_f64 v[34:35], v[26:27], s[6:7], v[24:25]
	v_fma_f64 v[38:39], v[26:27], s[4:5], v[24:25]
	v_add_f64 v[24:25], v[20:21], v[81:82]
	v_add_f64 v[26:27], v[56:57], -v[52:53]
	v_add_f64 v[40:41], v[24:25], v[58:59]
	v_add_f64 v[24:25], v[81:82], v[58:59]
	v_fma_f64 v[24:25], v[24:25], -0.5, v[20:21]
	v_fma_f64 v[20:21], v[26:27], s[4:5], v[24:25]
	v_fma_f64 v[44:45], v[26:27], s[6:7], v[24:25]
	v_add_f64 v[24:25], v[22:23], v[56:57]
	v_add_f64 v[26:27], v[81:82], -v[58:59]
	v_add_f64 v[42:43], v[24:25], v[52:53]
	v_add_f64 v[24:25], v[56:57], v[52:53]
	v_fma_f64 v[24:25], v[24:25], -0.5, v[22:23]
	;; [unrolled: 7-line block ×6, first 2 shown]
	v_fma_f64 v[14:15], v[26:27], s[6:7], v[24:25]
	v_fma_f64 v[81:82], v[26:27], s[4:5], v[24:25]
	v_mov_b32_e32 v25, 4
	v_mul_u32_u24_e32 v24, 0x240, v103
	v_lshlrev_b32_sdwa v26, v25, v104 dst_sel:DWORD dst_unused:UNUSED_PAD src0_sel:DWORD src1_sel:BYTE_0
	v_add3_u32 v24, 0, v24, v26
	ds_write_b128 v24, v[28:31]
	ds_write_b128 v24, v[32:35] offset:192
	ds_write_b128 v24, v[36:39] offset:384
	v_mul_u32_u24_e32 v24, 0x240, v105
	v_lshlrev_b32_sdwa v26, v25, v106 dst_sel:DWORD dst_unused:UNUSED_PAD src0_sel:DWORD src1_sel:BYTE_0
	v_add3_u32 v24, 0, v24, v26
	ds_write_b128 v24, v[40:43]
	ds_write_b128 v24, v[20:23] offset:192
	ds_write_b128 v24, v[44:47] offset:384
	v_mul_u32_u24_e32 v20, 0x240, v107
	v_lshlrev_b32_e32 v21, 4, v108
	v_add3_u32 v20, 0, v20, v21
	ds_write_b128 v20, v[48:51]
	ds_write_b128 v20, v[16:19] offset:192
	ds_write_b128 v20, v[52:55] offset:384
	v_mul_u32_u24_e32 v16, 0x240, v109
	v_lshlrev_b32_e32 v17, 4, v110
	v_add3_u32 v16, 0, v16, v17
	ds_write_b128 v16, v[56:59]
	ds_write_b128 v16, v[12:15] offset:192
	ds_write_b128 v16, v[79:82] offset:384
	s_and_saveexec_b64 s[10:11], vcc
	s_cbranch_execz .LBB0_21
; %bb.20:
	v_mul_u32_u24_sdwa v12, v68, s12 dst_sel:DWORD dst_unused:UNUSED_PAD src0_sel:WORD_0 src1_sel:DWORD
	v_lshrrev_b32_e32 v24, 19, v12
	v_mul_lo_u16_e32 v12, 12, v24
	v_sub_u16_e32 v26, v68, v12
	v_lshlrev_b32_e32 v20, 5, v26
	global_load_dwordx4 v[12:15], v20, s[8:9] offset:160
	global_load_dwordx4 v[16:19], v20, s[8:9] offset:176
	s_waitcnt vmcnt(1)
	v_mul_f64 v[20:21], v[4:5], v[14:15]
	s_waitcnt vmcnt(0)
	v_mul_f64 v[22:23], v[8:9], v[18:19]
	v_mul_f64 v[14:15], v[6:7], v[14:15]
	;; [unrolled: 1-line block ×3, first 2 shown]
	v_fma_f64 v[6:7], v[6:7], v[12:13], v[20:21]
	v_fma_f64 v[10:11], v[10:11], v[16:17], v[22:23]
	v_fma_f64 v[4:5], v[4:5], v[12:13], -v[14:15]
	v_fma_f64 v[8:9], v[8:9], v[16:17], -v[18:19]
	v_add_f64 v[18:19], v[2:3], v[6:7]
	v_add_f64 v[12:13], v[6:7], v[10:11]
	v_add_f64 v[20:21], v[6:7], -v[10:11]
	v_add_f64 v[14:15], v[4:5], v[8:9]
	v_add_f64 v[16:17], v[4:5], -v[8:9]
	v_add_f64 v[4:5], v[0:1], v[4:5]
	v_fma_f64 v[12:13], v[12:13], -0.5, v[2:3]
	v_add_f64 v[2:3], v[18:19], v[10:11]
	v_fma_f64 v[14:15], v[14:15], -0.5, v[0:1]
	v_add_f64 v[0:1], v[4:5], v[8:9]
	v_fma_f64 v[10:11], v[16:17], s[6:7], v[12:13]
	v_fma_f64 v[6:7], v[16:17], s[4:5], v[12:13]
	;; [unrolled: 1-line block ×4, first 2 shown]
	v_mul_lo_u16_e32 v12, 36, v24
	v_lshlrev_b32_e32 v12, 4, v12
	v_lshlrev_b32_e32 v13, 4, v26
	v_add3_u32 v12, 0, v13, v12
	ds_write_b128 v12, v[0:3]
	ds_write_b128 v12, v[8:11] offset:192
	ds_write_b128 v12, v[4:7] offset:384
.LBB0_21:
	s_or_b64 exec, exec, s[10:11]
	v_add_u32_e32 v24, v71, v78
	v_mov_b32_e32 v71, 57
	v_mul_lo_u16_sdwa v26, v60, v71 dst_sel:DWORD dst_unused:UNUSED_PAD src0_sel:BYTE_0 src1_sel:DWORD
	v_lshrrev_b16_e32 v26, 11, v26
	v_mul_lo_u16_e32 v27, 36, v26
	v_sub_u16_e32 v27, v60, v27
	v_mov_b32_e32 v106, 6
	v_mul_u32_u24_sdwa v78, v27, v106 dst_sel:DWORD dst_unused:UNUSED_PAD src0_sel:BYTE_0 src1_sel:DWORD
	v_lshlrev_b32_e32 v98, 4, v78
	s_waitcnt lgkmcnt(0)
	s_barrier
	ds_read_b128 v[4:7], v72
	ds_read_b128 v[8:11], v76
	;; [unrolled: 1-line block ×4, first 2 shown]
	ds_read_b128 v[20:23], v72 offset:16128
	ds_read_b128 v[28:31], v72 offset:20160
	ds_read_b128 v[32:35], v72 offset:24192
	ds_read_b128 v[0:3], v77
	ds_read_b128 v[36:39], v72 offset:6048
	ds_read_b128 v[40:43], v72 offset:10080
	;; [unrolled: 1-line block ×6, first 2 shown]
	global_load_dwordx4 v[78:81], v98, s[8:9] offset:592
	global_load_dwordx4 v[82:85], v98, s[8:9] offset:576
	;; [unrolled: 1-line block ×4, first 2 shown]
	s_mov_b32 s6, 0x36b3c0b5
	s_mov_b32 s12, 0xe976ee23
	;; [unrolled: 1-line block ×20, first 2 shown]
	v_mul_u32_u24_e32 v26, 0xfc0, v26
	v_lshlrev_b32_sdwa v27, v25, v27 dst_sel:DWORD dst_unused:UNUSED_PAD src0_sel:DWORD src1_sel:BYTE_0
	v_add3_u32 v26, 0, v26, v27
	s_waitcnt vmcnt(0) lgkmcnt(12)
	v_mul_f64 v[94:95], v[10:11], v[92:93]
	v_fma_f64 v[94:95], v[8:9], v[90:91], -v[94:95]
	v_mul_f64 v[8:9], v[8:9], v[92:93]
	v_fma_f64 v[90:91], v[10:11], v[90:91], v[8:9]
	s_waitcnt lgkmcnt(11)
	v_mul_f64 v[8:9], v[14:15], v[88:89]
	v_fma_f64 v[92:93], v[12:13], v[86:87], -v[8:9]
	v_mul_f64 v[8:9], v[12:13], v[88:89]
	v_fma_f64 v[86:87], v[14:15], v[86:87], v[8:9]
	s_waitcnt lgkmcnt(10)
	;; [unrolled: 5-line block ×3, first 2 shown]
	v_mul_f64 v[8:9], v[22:23], v[80:81]
	v_fma_f64 v[84:85], v[20:21], v[78:79], -v[8:9]
	v_mul_f64 v[8:9], v[20:21], v[80:81]
	v_fma_f64 v[96:97], v[22:23], v[78:79], v[8:9]
	global_load_dwordx4 v[8:11], v98, s[8:9] offset:624
	global_load_dwordx4 v[12:15], v98, s[8:9] offset:608
	s_waitcnt vmcnt(0) lgkmcnt(8)
	v_mul_f64 v[16:17], v[30:31], v[14:15]
	v_mul_f64 v[14:15], v[28:29], v[14:15]
	v_fma_f64 v[98:99], v[28:29], v[12:13], -v[16:17]
	v_fma_f64 v[100:101], v[30:31], v[12:13], v[14:15]
	s_waitcnt lgkmcnt(7)
	v_mul_f64 v[12:13], v[34:35], v[10:11]
	v_mul_f64 v[10:11], v[32:33], v[10:11]
	v_fma_f64 v[102:103], v[32:33], v[8:9], -v[12:13]
	v_fma_f64 v[104:105], v[34:35], v[8:9], v[10:11]
	v_mul_lo_u16_sdwa v8, v64, v71 dst_sel:DWORD dst_unused:UNUSED_PAD src0_sel:BYTE_0 src1_sel:DWORD
	v_lshrrev_b16_e32 v28, 11, v8
	v_mul_lo_u16_e32 v8, 36, v28
	v_sub_u16_e32 v29, v64, v8
	v_mul_u32_u24_sdwa v8, v29, v106 dst_sel:DWORD dst_unused:UNUSED_PAD src0_sel:BYTE_0 src1_sel:DWORD
	v_lshlrev_b32_e32 v71, 4, v8
	global_load_dwordx4 v[30:33], v71, s[8:9] offset:592
	global_load_dwordx4 v[18:21], v71, s[8:9] offset:576
	;; [unrolled: 1-line block ×4, first 2 shown]
	s_waitcnt vmcnt(3) lgkmcnt(2)
	v_mul_f64 v[22:23], v[48:49], v[32:33]
	s_waitcnt vmcnt(0)
	v_mul_f64 v[8:9], v[38:39], v[12:13]
	v_mul_f64 v[12:13], v[36:37], v[12:13]
	v_fma_f64 v[22:23], v[50:51], v[30:31], v[22:23]
	v_fma_f64 v[8:9], v[36:37], v[10:11], -v[8:9]
	v_fma_f64 v[14:15], v[38:39], v[10:11], v[12:13]
	v_mul_f64 v[12:13], v[40:41], v[80:81]
	v_mul_f64 v[10:11], v[42:43], v[80:81]
	v_fma_f64 v[16:17], v[42:43], v[78:79], v[12:13]
	v_mul_f64 v[12:13], v[46:47], v[20:21]
	v_mul_f64 v[20:21], v[44:45], v[20:21]
	v_fma_f64 v[10:11], v[40:41], v[78:79], -v[10:11]
	v_add_f64 v[40:41], v[86:87], v[100:101]
	v_add_f64 v[42:43], v[92:93], -v[98:99]
	v_fma_f64 v[12:13], v[44:45], v[18:19], -v[12:13]
	v_fma_f64 v[18:19], v[46:47], v[18:19], v[20:21]
	v_mul_f64 v[20:21], v[50:51], v[32:33]
	v_add_f64 v[44:45], v[86:87], -v[100:101]
	v_add_f64 v[46:47], v[88:89], v[84:85]
	v_add_f64 v[50:51], v[84:85], -v[88:89]
	v_fma_f64 v[20:21], v[48:49], v[30:31], -v[20:21]
	global_load_dwordx4 v[30:33], v71, s[8:9] offset:624
	global_load_dwordx4 v[34:37], v71, s[8:9] offset:608
	v_add_f64 v[48:49], v[82:83], v[96:97]
	v_add_f64 v[88:89], v[50:51], v[42:43]
	s_waitcnt vmcnt(0) lgkmcnt(0)
	s_barrier
	v_mul_f64 v[38:39], v[54:55], v[36:37]
	v_mul_f64 v[36:37], v[52:53], v[36:37]
	v_fma_f64 v[78:79], v[52:53], v[34:35], -v[38:39]
	v_fma_f64 v[54:55], v[54:55], v[34:35], v[36:37]
	v_mul_f64 v[34:35], v[58:59], v[32:33]
	v_mul_f64 v[32:33], v[56:57], v[32:33]
	v_add_f64 v[38:39], v[92:93], v[98:99]
	v_add_f64 v[52:53], v[96:97], -v[82:83]
	v_add_f64 v[36:37], v[90:91], -v[104:105]
	;; [unrolled: 1-line block ×3, first 2 shown]
	v_fma_f64 v[80:81], v[56:57], v[30:31], -v[34:35]
	v_fma_f64 v[56:57], v[58:59], v[30:31], v[32:33]
	v_add_f64 v[30:31], v[94:95], v[102:103]
	v_add_f64 v[32:33], v[90:91], v[104:105]
	v_add_f64 v[34:35], v[94:95], -v[102:103]
	v_add_f64 v[90:91], v[52:53], v[44:45]
	v_add_f64 v[94:95], v[52:53], -v[44:45]
	v_add_f64 v[52:53], v[36:37], -v[52:53]
	;; [unrolled: 1-line block ×3, first 2 shown]
	v_add_f64 v[58:59], v[38:39], v[30:31]
	v_add_f64 v[82:83], v[40:41], v[32:33]
	v_add_f64 v[84:85], v[38:39], -v[30:31]
	v_add_f64 v[86:87], v[40:41], -v[32:33]
	;; [unrolled: 1-line block ×6, first 2 shown]
	v_add_f64 v[46:47], v[46:47], v[58:59]
	v_add_f64 v[48:49], v[48:49], v[82:83]
	v_add_f64 v[50:51], v[34:35], -v[50:51]
	v_add_f64 v[42:43], v[42:43], -v[34:35]
	v_add_f64 v[34:35], v[88:89], v[34:35]
	v_add_f64 v[36:37], v[90:91], v[36:37]
	v_mul_f64 v[58:59], v[38:39], s[6:7]
	v_mul_f64 v[82:83], v[40:41], s[6:7]
	v_add_f64 v[4:5], v[4:5], v[46:47]
	v_add_f64 v[6:7], v[6:7], v[48:49]
	v_mul_f64 v[88:89], v[92:93], s[12:13]
	v_mul_f64 v[90:91], v[94:95], s[12:13]
	;; [unrolled: 1-line block ×6, first 2 shown]
	v_fma_f64 v[46:47], v[46:47], s[14:15], v[4:5]
	v_fma_f64 v[48:49], v[48:49], s[14:15], v[6:7]
	v_fma_f64 v[58:59], v[84:85], s[16:17], -v[58:59]
	v_fma_f64 v[82:83], v[86:87], s[16:17], -v[82:83]
	;; [unrolled: 1-line block ×4, first 2 shown]
	v_fma_f64 v[38:39], v[38:39], s[6:7], v[30:31]
	v_fma_f64 v[40:41], v[40:41], s[6:7], v[32:33]
	v_fma_f64 v[30:31], v[84:85], s[20:21], -v[30:31]
	v_fma_f64 v[84:85], v[50:51], s[22:23], v[88:89]
	v_fma_f64 v[50:51], v[50:51], s[24:25], -v[92:93]
	v_add_f64 v[58:59], v[58:59], v[46:47]
	v_add_f64 v[82:83], v[82:83], v[48:49]
	v_fma_f64 v[92:93], v[34:35], s[18:19], v[42:43]
	v_fma_f64 v[42:43], v[36:37], s[18:19], v[44:45]
	v_fma_f64 v[32:33], v[86:87], s[20:21], -v[32:33]
	v_fma_f64 v[86:87], v[52:53], s[22:23], v[90:91]
	v_fma_f64 v[52:53], v[52:53], s[24:25], -v[94:95]
	v_add_f64 v[88:89], v[38:39], v[46:47]
	v_add_f64 v[90:91], v[40:41], v[48:49]
	;; [unrolled: 1-line block ×4, first 2 shown]
	v_add_f64 v[38:39], v[58:59], -v[42:43]
	v_add_f64 v[42:43], v[42:43], v[58:59]
	v_add_f64 v[44:45], v[82:83], -v[92:93]
	v_add_f64 v[58:59], v[8:9], v[80:81]
	v_add_f64 v[82:83], v[14:15], v[56:57]
	v_add_f64 v[8:9], v[8:9], -v[80:81]
	v_add_f64 v[14:15], v[14:15], -v[56:57]
	v_add_f64 v[56:57], v[10:11], v[78:79]
	v_add_f64 v[80:81], v[16:17], v[54:55]
	;; [unrolled: 1-line block ×3, first 2 shown]
	v_fma_f64 v[84:85], v[34:35], s[18:19], v[84:85]
	v_fma_f64 v[86:87], v[36:37], s[18:19], v[86:87]
	;; [unrolled: 1-line block ×4, first 2 shown]
	v_add_f64 v[10:11], v[10:11], -v[78:79]
	v_add_f64 v[16:17], v[16:17], -v[54:55]
	v_add_f64 v[54:55], v[12:13], v[20:21]
	v_add_f64 v[78:79], v[18:19], v[22:23]
	v_add_f64 v[12:13], v[20:21], -v[12:13]
	v_add_f64 v[18:19], v[22:23], -v[18:19]
	v_add_f64 v[20:21], v[56:57], v[58:59]
	v_add_f64 v[22:23], v[80:81], v[82:83]
	;; [unrolled: 1-line block ×3, first 2 shown]
	v_add_f64 v[32:33], v[90:91], -v[84:85]
	v_add_f64 v[34:35], v[52:53], v[46:47]
	v_add_f64 v[36:37], v[48:49], -v[50:51]
	v_add_f64 v[46:47], v[46:47], -v[52:53]
	v_add_f64 v[48:49], v[50:51], v[48:49]
	v_add_f64 v[50:51], v[88:89], -v[86:87]
	v_add_f64 v[52:53], v[84:85], v[90:91]
	v_add_f64 v[84:85], v[56:57], -v[58:59]
	v_add_f64 v[86:87], v[80:81], -v[82:83]
	;; [unrolled: 1-line block ×6, first 2 shown]
	v_add_f64 v[88:89], v[12:13], v[10:11]
	v_add_f64 v[90:91], v[18:19], v[16:17]
	v_add_f64 v[92:93], v[12:13], -v[10:11]
	v_add_f64 v[94:95], v[18:19], -v[16:17]
	v_add_f64 v[20:21], v[54:55], v[20:21]
	v_add_f64 v[22:23], v[78:79], v[22:23]
	v_add_f64 v[10:11], v[10:11], -v[8:9]
	v_add_f64 v[16:17], v[16:17], -v[14:15]
	;; [unrolled: 1-line block ×4, first 2 shown]
	v_add_f64 v[8:9], v[88:89], v[8:9]
	v_add_f64 v[14:15], v[90:91], v[14:15]
	;; [unrolled: 1-line block ×4, first 2 shown]
	v_mul_f64 v[54:55], v[58:59], s[4:5]
	v_mul_f64 v[58:59], v[82:83], s[4:5]
	;; [unrolled: 1-line block ×8, first 2 shown]
	v_fma_f64 v[20:21], v[20:21], s[14:15], v[0:1]
	v_fma_f64 v[22:23], v[22:23], s[14:15], v[2:3]
	;; [unrolled: 1-line block ×4, first 2 shown]
	v_fma_f64 v[78:79], v[84:85], s[16:17], -v[78:79]
	v_fma_f64 v[82:83], v[86:87], s[16:17], -v[82:83]
	;; [unrolled: 1-line block ×4, first 2 shown]
	v_fma_f64 v[84:85], v[12:13], s[22:23], v[88:89]
	v_fma_f64 v[86:87], v[18:19], s[22:23], v[90:91]
	v_fma_f64 v[12:13], v[12:13], s[24:25], -v[92:93]
	v_fma_f64 v[18:19], v[18:19], s[24:25], -v[94:95]
	;; [unrolled: 1-line block ×4, first 2 shown]
	v_add_f64 v[88:89], v[56:57], v[20:21]
	v_add_f64 v[80:81], v[80:81], v[22:23]
	v_add_f64 v[56:57], v[78:79], v[20:21]
	v_add_f64 v[78:79], v[82:83], v[22:23]
	v_fma_f64 v[82:83], v[8:9], s[18:19], v[84:85]
	v_fma_f64 v[84:85], v[14:15], s[18:19], v[86:87]
	v_add_f64 v[54:55], v[54:55], v[20:21]
	v_add_f64 v[58:59], v[58:59], v[22:23]
	v_fma_f64 v[86:87], v[8:9], s[18:19], v[12:13]
	v_fma_f64 v[90:91], v[14:15], s[18:19], v[18:19]
	v_fma_f64 v[22:23], v[8:9], s[18:19], v[10:11]
	v_fma_f64 v[20:21], v[14:15], s[18:19], v[16:17]
	v_add_f64 v[10:11], v[80:81], -v[82:83]
	v_add_f64 v[8:9], v[84:85], v[88:89]
	v_add_f64 v[80:81], v[82:83], v[80:81]
	ds_write_b128 v26, v[4:7]
	ds_write_b128 v26, v[30:33] offset:576
	ds_write_b128 v26, v[34:37] offset:1152
	;; [unrolled: 1-line block ×6, first 2 shown]
	v_add_f64 v[14:15], v[58:59], -v[86:87]
	v_add_f64 v[12:13], v[90:91], v[54:55]
	v_add_f64 v[18:19], v[22:23], v[78:79]
	v_add_f64 v[16:17], v[56:57], -v[20:21]
	v_add_f64 v[20:21], v[20:21], v[56:57]
	v_add_f64 v[22:23], v[78:79], -v[22:23]
	v_add_f64 v[54:55], v[54:55], -v[90:91]
	v_add_f64 v[56:57], v[86:87], v[58:59]
	v_add_f64 v[78:79], v[88:89], -v[84:85]
	v_mul_u32_u24_e32 v4, 0xfc0, v28
	v_lshlrev_b32_sdwa v5, v25, v29 dst_sel:DWORD dst_unused:UNUSED_PAD src0_sel:DWORD src1_sel:BYTE_0
	v_add3_u32 v4, 0, v4, v5
	ds_write_b128 v4, v[0:3]
	ds_write_b128 v4, v[8:11] offset:576
	ds_write_b128 v4, v[12:15] offset:1152
	;; [unrolled: 1-line block ×6, first 2 shown]
	v_mul_u32_u24_e32 v57, 6, v60
	v_lshlrev_b32_e32 v59, 4, v57
	s_waitcnt lgkmcnt(0)
	s_barrier
	ds_read_b128 v[4:7], v72
	ds_read_b128 v[16:19], v76
	ds_read_b128 v[20:23], v74
	ds_read_b128 v[25:28], v24
	ds_read_b128 v[29:32], v72 offset:16128
	ds_read_b128 v[33:36], v72 offset:20160
	;; [unrolled: 1-line block ×3, first 2 shown]
	ds_read_b128 v[0:3], v77
	ds_read_b128 v[41:44], v72 offset:6048
	ds_read_b128 v[45:48], v72 offset:10080
	;; [unrolled: 1-line block ×6, first 2 shown]
	global_load_dwordx4 v[78:81], v59, s[8:9] offset:4048
	global_load_dwordx4 v[82:85], v59, s[8:9] offset:4032
	;; [unrolled: 1-line block ×4, first 2 shown]
	s_waitcnt vmcnt(0) lgkmcnt(12)
	v_mul_f64 v[57:58], v[18:19], v[92:93]
	v_fma_f64 v[57:58], v[16:17], v[90:91], -v[57:58]
	v_mul_f64 v[16:17], v[16:17], v[92:93]
	v_fma_f64 v[90:91], v[18:19], v[90:91], v[16:17]
	s_waitcnt lgkmcnt(11)
	v_mul_f64 v[16:17], v[22:23], v[88:89]
	v_fma_f64 v[92:93], v[20:21], v[86:87], -v[16:17]
	v_mul_f64 v[16:17], v[20:21], v[88:89]
	v_fma_f64 v[86:87], v[22:23], v[86:87], v[16:17]
	s_waitcnt lgkmcnt(10)
	;; [unrolled: 5-line block ×3, first 2 shown]
	v_mul_f64 v[16:17], v[31:32], v[80:81]
	v_fma_f64 v[84:85], v[29:30], v[78:79], -v[16:17]
	v_mul_f64 v[16:17], v[29:30], v[80:81]
	v_fma_f64 v[78:79], v[31:32], v[78:79], v[16:17]
	global_load_dwordx4 v[16:19], v59, s[8:9] offset:4080
	global_load_dwordx4 v[20:23], v59, s[8:9] offset:4064
	s_waitcnt vmcnt(0) lgkmcnt(8)
	v_mul_f64 v[25:26], v[35:36], v[22:23]
	v_mul_f64 v[22:23], v[33:34], v[22:23]
	v_fma_f64 v[80:81], v[33:34], v[20:21], -v[25:26]
	v_fma_f64 v[22:23], v[35:36], v[20:21], v[22:23]
	s_waitcnt lgkmcnt(7)
	v_mul_f64 v[20:21], v[39:40], v[18:19]
	v_mul_f64 v[18:19], v[37:38], v[18:19]
	v_fma_f64 v[94:95], v[37:38], v[16:17], -v[20:21]
	v_fma_f64 v[37:38], v[39:40], v[16:17], v[18:19]
	v_mul_i32_i24_e32 v16, 6, v64
	v_mov_b32_e32 v17, 0
	v_lshlrev_b64 v[18:19], 4, v[16:17]
	v_mov_b32_e32 v16, s9
	v_add_co_u32_e32 v39, vcc, s8, v18
	v_addc_co_u32_e32 v40, vcc, v16, v19, vcc
	global_load_dwordx4 v[18:21], v[39:40], off offset:4048
	global_load_dwordx4 v[25:28], v[39:40], off offset:4032
	;; [unrolled: 1-line block ×4, first 2 shown]
	v_cmp_ne_u32_e32 vcc, 0, v60
	s_waitcnt vmcnt(0) lgkmcnt(5)
	v_mul_f64 v[96:97], v[43:44], v[35:36]
	v_mul_f64 v[35:36], v[41:42], v[35:36]
	v_fma_f64 v[96:97], v[41:42], v[33:34], -v[96:97]
	v_fma_f64 v[41:42], v[43:44], v[33:34], v[35:36]
	s_waitcnt lgkmcnt(4)
	v_mul_f64 v[33:34], v[47:48], v[31:32]
	v_mul_f64 v[31:32], v[45:46], v[31:32]
	v_fma_f64 v[43:44], v[45:46], v[29:30], -v[33:34]
	v_fma_f64 v[45:46], v[47:48], v[29:30], v[31:32]
	s_waitcnt lgkmcnt(3)
	v_mul_f64 v[29:30], v[51:52], v[27:28]
	v_mul_f64 v[27:28], v[49:50], v[27:28]
	v_add_f64 v[31:32], v[84:85], -v[88:89]
	v_add_f64 v[33:34], v[78:79], -v[82:83]
	v_fma_f64 v[47:48], v[49:50], v[25:26], -v[29:30]
	v_fma_f64 v[49:50], v[51:52], v[25:26], v[27:28]
	s_waitcnt lgkmcnt(2)
	v_mul_f64 v[25:26], v[55:56], v[20:21]
	v_mul_f64 v[20:21], v[53:54], v[20:21]
	v_fma_f64 v[51:52], v[53:54], v[18:19], -v[25:26]
	v_fma_f64 v[53:54], v[55:56], v[18:19], v[20:21]
	global_load_dwordx4 v[18:21], v[39:40], off offset:4080
	global_load_dwordx4 v[25:28], v[39:40], off offset:4064
	s_waitcnt vmcnt(0) lgkmcnt(0)
	s_barrier
	v_mul_f64 v[29:30], v[14:15], v[27:28]
	v_fma_f64 v[39:40], v[12:13], v[25:26], -v[29:30]
	v_mul_f64 v[12:13], v[12:13], v[27:28]
	v_add_f64 v[27:28], v[88:89], v[84:85]
	v_add_f64 v[29:30], v[82:83], v[78:79]
	v_fma_f64 v[55:56], v[14:15], v[25:26], v[12:13]
	v_mul_f64 v[12:13], v[10:11], v[20:21]
	v_add_f64 v[14:15], v[90:91], -v[37:38]
	v_add_f64 v[25:26], v[92:93], -v[80:81]
	v_fma_f64 v[98:99], v[8:9], v[18:19], -v[12:13]
	v_mul_f64 v[8:9], v[8:9], v[20:21]
	v_add_f64 v[20:21], v[86:87], v[22:23]
	v_add_f64 v[22:23], v[86:87], -v[22:23]
	v_add_f64 v[12:13], v[57:58], -v[94:95]
	;; [unrolled: 1-line block ×3, first 2 shown]
	v_fma_f64 v[100:101], v[10:11], v[18:19], v[8:9]
	v_add_f64 v[8:9], v[57:58], v[94:95]
	v_add_f64 v[10:11], v[90:91], v[37:38]
	;; [unrolled: 1-line block ×5, first 2 shown]
	v_add_f64 v[86:87], v[33:34], -v[22:23]
	v_add_f64 v[31:32], v[12:13], -v[31:32]
	;; [unrolled: 1-line block ×4, first 2 shown]
	v_add_f64 v[37:38], v[20:21], v[10:11]
	v_add_f64 v[35:36], v[18:19], v[8:9]
	v_add_f64 v[57:58], v[18:19], -v[8:9]
	v_add_f64 v[78:79], v[20:21], -v[10:11]
	;; [unrolled: 1-line block ×6, first 2 shown]
	v_add_f64 v[29:30], v[29:30], v[37:38]
	v_add_f64 v[27:28], v[27:28], v[35:36]
	v_add_f64 v[22:23], v[22:23], -v[14:15]
	v_add_f64 v[12:13], v[80:81], v[12:13]
	v_add_f64 v[14:15], v[82:83], v[14:15]
	v_mul_f64 v[8:9], v[8:9], s[4:5]
	v_mul_f64 v[10:11], v[10:11], s[4:5]
	;; [unrolled: 1-line block ×3, first 2 shown]
	v_add_f64 v[6:7], v[6:7], v[29:30]
	v_add_f64 v[4:5], v[4:5], v[27:28]
	v_mul_f64 v[37:38], v[20:21], s[6:7]
	v_mul_f64 v[80:81], v[84:85], s[12:13]
	;; [unrolled: 1-line block ×5, first 2 shown]
	v_fma_f64 v[18:19], v[18:19], s[6:7], v[8:9]
	v_fma_f64 v[29:30], v[29:30], s[14:15], v[6:7]
	;; [unrolled: 1-line block ×4, first 2 shown]
	v_fma_f64 v[35:36], v[57:58], s[16:17], -v[35:36]
	v_fma_f64 v[37:38], v[78:79], s[16:17], -v[37:38]
	;; [unrolled: 1-line block ×4, first 2 shown]
	v_fma_f64 v[78:79], v[33:34], s[22:23], v[82:83]
	v_fma_f64 v[25:26], v[25:26], s[10:11], -v[80:81]
	v_fma_f64 v[22:23], v[22:23], s[10:11], -v[82:83]
	v_fma_f64 v[57:58], v[31:32], s[22:23], v[80:81]
	v_fma_f64 v[31:32], v[31:32], s[24:25], -v[84:85]
	v_fma_f64 v[33:34], v[33:34], s[24:25], -v[86:87]
	v_add_f64 v[80:81], v[18:19], v[27:28]
	v_add_f64 v[35:36], v[35:36], v[27:28]
	;; [unrolled: 1-line block ×4, first 2 shown]
	v_fma_f64 v[78:79], v[14:15], s[18:19], v[78:79]
	v_fma_f64 v[27:28], v[12:13], s[18:19], v[25:26]
	;; [unrolled: 1-line block ×3, first 2 shown]
	v_add_f64 v[82:83], v[20:21], v[29:30]
	v_add_f64 v[86:87], v[10:11], v[29:30]
	v_fma_f64 v[57:58], v[12:13], s[18:19], v[57:58]
	v_fma_f64 v[29:30], v[14:15], s[18:19], v[33:34]
	;; [unrolled: 1-line block ×3, first 2 shown]
	v_add_f64 v[8:9], v[78:79], v[80:81]
	v_add_f64 v[20:21], v[27:28], v[37:38]
	v_add_f64 v[18:19], v[35:36], -v[22:23]
	v_add_f64 v[25:26], v[22:23], v[35:36]
	v_add_f64 v[27:28], v[37:38], -v[27:28]
	v_add_f64 v[33:34], v[80:81], -v[78:79]
	v_add_f64 v[22:23], v[96:97], v[98:99]
	v_add_f64 v[37:38], v[41:42], v[100:101]
	;; [unrolled: 1-line block ×4, first 2 shown]
	v_add_f64 v[10:11], v[82:83], -v[57:58]
	v_add_f64 v[35:36], v[57:58], v[82:83]
	v_add_f64 v[57:58], v[96:97], -v[98:99]
	v_add_f64 v[41:42], v[41:42], -v[100:101]
	;; [unrolled: 1-line block ×4, first 2 shown]
	v_add_f64 v[45:46], v[47:48], v[51:52]
	v_add_f64 v[55:56], v[49:50], v[53:54]
	v_add_f64 v[47:48], v[51:52], -v[47:48]
	v_add_f64 v[49:50], v[53:54], -v[49:50]
	v_add_f64 v[51:52], v[78:79], v[22:23]
	v_add_f64 v[53:54], v[80:81], v[37:38]
	;; [unrolled: 1-line block ×3, first 2 shown]
	v_add_f64 v[14:15], v[86:87], -v[31:32]
	v_add_f64 v[29:30], v[84:85], -v[29:30]
	v_add_f64 v[31:32], v[31:32], v[86:87]
	v_add_f64 v[82:83], v[78:79], -v[22:23]
	v_add_f64 v[84:85], v[80:81], -v[37:38]
	;; [unrolled: 1-line block ×6, first 2 shown]
	v_add_f64 v[86:87], v[47:48], v[39:40]
	v_add_f64 v[88:89], v[49:50], v[43:44]
	v_add_f64 v[90:91], v[47:48], -v[39:40]
	v_add_f64 v[92:93], v[49:50], -v[43:44]
	;; [unrolled: 1-line block ×4, first 2 shown]
	v_add_f64 v[45:46], v[45:46], v[51:52]
	v_add_f64 v[51:52], v[55:56], v[53:54]
	v_add_f64 v[47:48], v[57:58], -v[47:48]
	v_add_f64 v[49:50], v[41:42], -v[49:50]
	v_add_f64 v[53:54], v[86:87], v[57:58]
	v_add_f64 v[41:42], v[88:89], v[41:42]
	v_mul_f64 v[22:23], v[22:23], s[4:5]
	v_mul_f64 v[37:38], v[37:38], s[4:5]
	v_add_f64 v[0:1], v[0:1], v[45:46]
	v_add_f64 v[2:3], v[2:3], v[51:52]
	v_mul_f64 v[55:56], v[78:79], s[6:7]
	v_mul_f64 v[57:58], v[80:81], s[6:7]
	;; [unrolled: 1-line block ×6, first 2 shown]
	v_fma_f64 v[45:46], v[45:46], s[14:15], v[0:1]
	v_fma_f64 v[51:52], v[51:52], s[14:15], v[2:3]
	v_fma_f64 v[78:79], v[78:79], s[6:7], v[22:23]
	v_fma_f64 v[80:81], v[80:81], s[6:7], v[37:38]
	v_fma_f64 v[55:56], v[82:83], s[16:17], -v[55:56]
	v_fma_f64 v[57:58], v[84:85], s[16:17], -v[57:58]
	;; [unrolled: 1-line block ×4, first 2 shown]
	v_fma_f64 v[82:83], v[47:48], s[22:23], v[86:87]
	v_fma_f64 v[84:85], v[49:50], s[22:23], v[88:89]
	v_fma_f64 v[39:40], v[39:40], s[10:11], -v[86:87]
	v_fma_f64 v[43:44], v[43:44], s[10:11], -v[88:89]
	;; [unrolled: 1-line block ×4, first 2 shown]
	v_add_f64 v[78:79], v[78:79], v[45:46]
	v_add_f64 v[80:81], v[80:81], v[51:52]
	v_add_f64 v[55:56], v[55:56], v[45:46]
	v_add_f64 v[57:58], v[57:58], v[51:52]
	v_add_f64 v[22:23], v[22:23], v[45:46]
	v_add_f64 v[86:87], v[37:38], v[51:52]
	v_fma_f64 v[82:83], v[53:54], s[18:19], v[82:83]
	v_fma_f64 v[84:85], v[41:42], s[18:19], v[84:85]
	;; [unrolled: 1-line block ×6, first 2 shown]
	s_add_u32 s6, s8, 0x6e20
	s_addc_u32 s7, s9, 0
	v_add_f64 v[39:40], v[80:81], -v[82:83]
	v_add_f64 v[37:38], v[84:85], v[78:79]
	v_add_f64 v[47:48], v[51:52], v[57:58]
	v_add_f64 v[45:46], v[55:56], -v[88:89]
	v_add_f64 v[43:44], v[86:87], -v[90:91]
	v_add_f64 v[41:42], v[53:54], v[22:23]
	v_add_f64 v[49:50], v[88:89], v[55:56]
	v_add_f64 v[51:52], v[57:58], -v[51:52]
	v_add_f64 v[53:54], v[22:23], -v[53:54]
	v_add_f64 v[55:56], v[90:91], v[86:87]
	v_add_f64 v[78:79], v[78:79], -v[84:85]
	v_add_f64 v[80:81], v[82:83], v[80:81]
	ds_write_b128 v72, v[4:7]
	ds_write_b128 v72, v[8:11] offset:4032
	ds_write_b128 v72, v[12:15] offset:8064
	;; [unrolled: 1-line block ×6, first 2 shown]
	ds_write_b128 v77, v[0:3]
	ds_write_b128 v77, v[37:40] offset:4032
	ds_write_b128 v77, v[41:44] offset:8064
	;; [unrolled: 1-line block ×6, first 2 shown]
	s_waitcnt lgkmcnt(0)
	s_barrier
	ds_read_b128 v[4:7], v72
	v_sub_u32_e32 v12, 0, v61
                                        ; implicit-def: $vgpr0_vgpr1
                                        ; implicit-def: $vgpr8_vgpr9
                                        ; implicit-def: $vgpr10_vgpr11
	s_and_saveexec_b64 s[4:5], vcc
	s_xor_b64 s[4:5], exec, s[4:5]
	s_cbranch_execz .LBB0_23
; %bb.22:
	v_mov_b32_e32 v61, v17
	v_lshlrev_b64 v[0:1], 4, v[60:61]
	v_mov_b32_e32 v2, s7
	v_add_co_u32_e32 v0, vcc, s6, v0
	v_addc_co_u32_e32 v1, vcc, v2, v1, vcc
	global_load_dwordx4 v[13:16], v[0:1], off
	ds_read_b128 v[0:3], v12 offset:28224
	s_waitcnt lgkmcnt(0)
	v_add_f64 v[8:9], v[4:5], -v[0:1]
	v_add_f64 v[10:11], v[6:7], v[2:3]
	v_add_f64 v[2:3], v[6:7], -v[2:3]
	v_add_f64 v[0:1], v[4:5], v[0:1]
	v_mul_f64 v[6:7], v[8:9], 0.5
	v_mul_f64 v[4:5], v[10:11], 0.5
	;; [unrolled: 1-line block ×3, first 2 shown]
	s_waitcnt vmcnt(0)
	v_mul_f64 v[8:9], v[6:7], v[15:16]
	v_fma_f64 v[10:11], v[4:5], v[15:16], v[2:3]
	v_fma_f64 v[2:3], v[4:5], v[15:16], -v[2:3]
	v_fma_f64 v[17:18], v[0:1], 0.5, v[8:9]
	v_fma_f64 v[0:1], v[0:1], 0.5, -v[8:9]
	v_fma_f64 v[10:11], -v[13:14], v[6:7], v[10:11]
	v_fma_f64 v[2:3], -v[13:14], v[6:7], v[2:3]
	v_fma_f64 v[8:9], v[4:5], v[13:14], v[17:18]
	v_fma_f64 v[0:1], -v[4:5], v[13:14], v[0:1]
                                        ; implicit-def: $vgpr4_vgpr5
.LBB0_23:
	s_or_saveexec_b64 s[4:5], s[4:5]
	v_sub_u32_e32 v13, 0, v65
	s_xor_b64 exec, exec, s[4:5]
	s_cbranch_execz .LBB0_25
; %bb.24:
	s_waitcnt lgkmcnt(0)
	v_add_f64 v[8:9], v[4:5], v[6:7]
	v_add_f64 v[0:1], v[4:5], -v[6:7]
	v_mov_b32_e32 v4, 0
	ds_read_b64 v[2:3], v4 offset:14120
	v_mov_b32_e32 v10, 0
	v_mov_b32_e32 v11, 0
	s_waitcnt lgkmcnt(0)
	v_xor_b32_e32 v3, 0x80000000, v3
	ds_write_b64 v4, v[2:3] offset:14120
	v_mov_b32_e32 v2, v10
	v_mov_b32_e32 v3, v11
.LBB0_25:
	s_or_b64 exec, exec, s[4:5]
	v_mov_b32_e32 v65, 0
	s_waitcnt lgkmcnt(0)
	v_lshlrev_b64 v[4:5], 4, v[64:65]
	v_mov_b32_e32 v6, s7
	v_add_co_u32_e32 v4, vcc, s6, v4
	v_addc_co_u32_e32 v5, vcc, v6, v5, vcc
	global_load_dwordx4 v[4:7], v[4:5], off
	v_mov_b32_e32 v71, v65
	v_lshlrev_b64 v[14:15], 4, v[70:71]
	v_mov_b32_e32 v16, s7
	v_add_co_u32_e32 v14, vcc, s6, v14
	v_addc_co_u32_e32 v15, vcc, v16, v15, vcc
	global_load_dwordx4 v[14:17], v[14:15], off
	ds_write2_b64 v72, v[8:9], v[10:11] offset1:1
	ds_write_b128 v12, v[0:3] offset:28224
	ds_read_b128 v[0:3], v77
	ds_read_b128 v[8:11], v12 offset:26208
	v_mov_b32_e32 v70, v65
	v_mov_b32_e32 v27, s7
	s_waitcnt lgkmcnt(0)
	v_add_f64 v[18:19], v[0:1], -v[8:9]
	v_add_f64 v[20:21], v[2:3], v[10:11]
	v_add_f64 v[2:3], v[2:3], -v[10:11]
	v_add_f64 v[0:1], v[0:1], v[8:9]
	v_mul_f64 v[10:11], v[18:19], 0.5
	v_mul_f64 v[18:19], v[20:21], 0.5
	v_mul_f64 v[2:3], v[2:3], 0.5
	v_lshlrev_b64 v[20:21], 4, v[69:70]
	v_mov_b32_e32 v69, v65
	s_waitcnt vmcnt(1)
	v_mul_f64 v[8:9], v[10:11], v[6:7]
	v_fma_f64 v[22:23], v[18:19], v[6:7], v[2:3]
	v_fma_f64 v[6:7], v[18:19], v[6:7], -v[2:3]
	v_fma_f64 v[25:26], v[0:1], 0.5, v[8:9]
	v_fma_f64 v[8:9], v[0:1], 0.5, -v[8:9]
	v_add_co_u32_e32 v0, vcc, s6, v20
	v_addc_co_u32_e32 v1, vcc, v27, v21, vcc
	global_load_dwordx4 v[0:3], v[0:1], off
	v_fma_f64 v[20:21], -v[4:5], v[10:11], v[22:23]
	v_fma_f64 v[6:7], -v[4:5], v[10:11], v[6:7]
	v_fma_f64 v[10:11], v[18:19], v[4:5], v[25:26]
	v_fma_f64 v[4:5], -v[18:19], v[4:5], v[8:9]
	ds_write_b64 v77, v[20:21] offset:8
	ds_write_b64 v12, v[6:7] offset:26216
	ds_write_b64 v77, v[10:11]
	ds_write_b64 v12, v[4:5] offset:26208
	ds_read_b128 v[4:7], v76
	ds_read_b128 v[8:11], v12 offset:24192
	s_waitcnt lgkmcnt(0)
	v_add_f64 v[18:19], v[4:5], -v[8:9]
	v_add_f64 v[20:21], v[6:7], v[10:11]
	v_add_f64 v[6:7], v[6:7], -v[10:11]
	v_add_f64 v[4:5], v[4:5], v[8:9]
	v_mul_f64 v[10:11], v[18:19], 0.5
	v_mul_f64 v[18:19], v[20:21], 0.5
	v_mul_f64 v[6:7], v[6:7], 0.5
	v_lshlrev_b64 v[20:21], 4, v[68:69]
	v_mov_b32_e32 v68, v65
	s_waitcnt vmcnt(1)
	v_mul_f64 v[8:9], v[10:11], v[16:17]
	v_fma_f64 v[22:23], v[18:19], v[16:17], v[6:7]
	v_fma_f64 v[16:17], v[18:19], v[16:17], -v[6:7]
	v_fma_f64 v[25:26], v[4:5], 0.5, v[8:9]
	v_fma_f64 v[8:9], v[4:5], 0.5, -v[8:9]
	v_add_co_u32_e32 v4, vcc, s6, v20
	v_addc_co_u32_e32 v5, vcc, v27, v21, vcc
	global_load_dwordx4 v[4:7], v[4:5], off
	v_fma_f64 v[20:21], -v[14:15], v[10:11], v[22:23]
	v_fma_f64 v[10:11], -v[14:15], v[10:11], v[16:17]
	v_fma_f64 v[16:17], v[18:19], v[14:15], v[25:26]
	v_fma_f64 v[8:9], -v[18:19], v[14:15], v[8:9]
	ds_write_b64 v76, v[20:21] offset:8
	ds_write_b64 v12, v[10:11] offset:24200
	ds_write_b64 v76, v[16:17]
	ds_write_b64 v12, v[8:9] offset:24192
	ds_read_b128 v[8:11], v75
	ds_read_b128 v[14:17], v12 offset:22176
	;; [unrolled: 29-line block ×3, first 2 shown]
	s_waitcnt lgkmcnt(0)
	v_add_f64 v[18:19], v[0:1], -v[14:15]
	v_add_f64 v[20:21], v[2:3], v[16:17]
	v_add_f64 v[2:3], v[2:3], -v[16:17]
	v_add_f64 v[0:1], v[0:1], v[14:15]
	v_mul_f64 v[16:17], v[18:19], 0.5
	v_mul_f64 v[18:19], v[20:21], 0.5
	;; [unrolled: 1-line block ×3, first 2 shown]
	v_lshlrev_b64 v[20:21], 4, v[66:67]
	s_waitcnt vmcnt(1)
	v_mul_f64 v[14:15], v[16:17], v[6:7]
	v_fma_f64 v[22:23], v[18:19], v[6:7], v[2:3]
	v_fma_f64 v[6:7], v[18:19], v[6:7], -v[2:3]
	v_fma_f64 v[25:26], v[0:1], 0.5, v[14:15]
	v_fma_f64 v[14:15], v[0:1], 0.5, -v[14:15]
	v_add_co_u32_e32 v0, vcc, s6, v20
	v_addc_co_u32_e32 v1, vcc, v27, v21, vcc
	global_load_dwordx4 v[0:3], v[0:1], off
	v_fma_f64 v[20:21], -v[4:5], v[16:17], v[22:23]
	v_fma_f64 v[6:7], -v[4:5], v[16:17], v[6:7]
	v_fma_f64 v[16:17], v[18:19], v[4:5], v[25:26]
	v_fma_f64 v[4:5], -v[18:19], v[4:5], v[14:15]
	v_add_u32_e32 v22, v73, v13
	ds_write_b64 v74, v[20:21] offset:8
	ds_write_b64 v12, v[6:7] offset:20168
	ds_write_b64 v74, v[16:17]
	ds_write_b64 v12, v[4:5] offset:20160
	ds_read_b128 v[4:7], v22
	ds_read_b128 v[13:16], v12 offset:18144
	s_waitcnt lgkmcnt(0)
	v_add_f64 v[17:18], v[4:5], -v[13:14]
	v_add_f64 v[19:20], v[6:7], v[15:16]
	v_add_f64 v[6:7], v[6:7], -v[15:16]
	v_add_f64 v[4:5], v[4:5], v[13:14]
	v_mul_f64 v[15:16], v[17:18], 0.5
	v_mul_f64 v[17:18], v[19:20], 0.5
	;; [unrolled: 1-line block ×3, first 2 shown]
	s_waitcnt vmcnt(1)
	v_mul_f64 v[13:14], v[15:16], v[10:11]
	v_fma_f64 v[19:20], v[17:18], v[10:11], v[6:7]
	v_fma_f64 v[6:7], v[17:18], v[10:11], -v[6:7]
	v_fma_f64 v[10:11], v[4:5], 0.5, v[13:14]
	v_fma_f64 v[4:5], v[4:5], 0.5, -v[13:14]
	v_fma_f64 v[13:14], -v[8:9], v[15:16], v[19:20]
	v_fma_f64 v[6:7], -v[8:9], v[15:16], v[6:7]
	v_fma_f64 v[10:11], v[17:18], v[8:9], v[10:11]
	v_fma_f64 v[4:5], -v[17:18], v[8:9], v[4:5]
	ds_write_b64 v22, v[13:14] offset:8
	ds_write_b64 v12, v[6:7] offset:18152
	ds_write_b64 v22, v[10:11]
	ds_write_b64 v12, v[4:5] offset:18144
	ds_read_b128 v[4:7], v24
	ds_read_b128 v[8:11], v12 offset:16128
	s_waitcnt lgkmcnt(0)
	v_add_f64 v[13:14], v[4:5], -v[8:9]
	v_add_f64 v[15:16], v[6:7], v[10:11]
	v_add_f64 v[6:7], v[6:7], -v[10:11]
	v_add_f64 v[4:5], v[4:5], v[8:9]
	v_mul_f64 v[10:11], v[13:14], 0.5
	v_mul_f64 v[13:14], v[15:16], 0.5
	;; [unrolled: 1-line block ×3, first 2 shown]
	s_waitcnt vmcnt(0)
	v_mul_f64 v[8:9], v[10:11], v[2:3]
	v_fma_f64 v[15:16], v[13:14], v[2:3], v[6:7]
	v_fma_f64 v[2:3], v[13:14], v[2:3], -v[6:7]
	v_fma_f64 v[6:7], v[4:5], 0.5, v[8:9]
	v_fma_f64 v[4:5], v[4:5], 0.5, -v[8:9]
	v_fma_f64 v[8:9], -v[0:1], v[10:11], v[15:16]
	v_fma_f64 v[2:3], -v[0:1], v[10:11], v[2:3]
	v_fma_f64 v[6:7], v[13:14], v[0:1], v[6:7]
	v_fma_f64 v[0:1], -v[13:14], v[0:1], v[4:5]
	ds_write_b64 v24, v[8:9] offset:8
	ds_write_b64 v12, v[2:3] offset:16136
	ds_write_b64 v24, v[6:7]
	ds_write_b64 v12, v[0:1] offset:16128
	s_waitcnt lgkmcnt(0)
	s_barrier
	s_and_saveexec_b64 s[4:5], s[0:1]
	s_cbranch_execz .LBB0_28
; %bb.26:
	v_mov_b32_e32 v61, v65
	v_mov_b32_e32 v0, s3
	v_add_co_u32_e32 v1, vcc, s2, v62
	v_lshlrev_b64 v[14:15], 4, v[60:61]
	ds_read_b128 v[2:5], v72
	ds_read_b128 v[6:9], v72 offset:2016
	ds_read_b128 v[10:13], v72 offset:4032
	v_addc_co_u32_e32 v0, vcc, v0, v63, vcc
	v_add_co_u32_e32 v14, vcc, v1, v14
	v_addc_co_u32_e32 v15, vcc, v0, v15, vcc
	s_waitcnt lgkmcnt(2)
	global_store_dwordx4 v[14:15], v[2:5], off
	s_waitcnt lgkmcnt(1)
	global_store_dwordx4 v[14:15], v[6:9], off offset:2016
	ds_read_b128 v[2:5], v72 offset:6048
	ds_read_b128 v[6:9], v72 offset:8064
	s_movk_i32 s0, 0x1000
	s_waitcnt lgkmcnt(2)
	global_store_dwordx4 v[14:15], v[10:13], off offset:4032
	s_nop 0
	v_add_co_u32_e32 v10, vcc, s0, v14
	v_addc_co_u32_e32 v11, vcc, 0, v15, vcc
	s_waitcnt lgkmcnt(1)
	global_store_dwordx4 v[10:11], v[2:5], off offset:1952
	ds_read_b128 v[2:5], v72 offset:10080
	s_waitcnt lgkmcnt(1)
	global_store_dwordx4 v[10:11], v[6:9], off offset:3968
	ds_read_b128 v[6:9], v72 offset:12096
	s_movk_i32 s0, 0x2000
	v_add_co_u32_e32 v10, vcc, s0, v14
	v_addc_co_u32_e32 v11, vcc, 0, v15, vcc
	s_waitcnt lgkmcnt(1)
	global_store_dwordx4 v[10:11], v[2:5], off offset:1888
	ds_read_b128 v[2:5], v72 offset:14112
	s_waitcnt lgkmcnt(1)
	global_store_dwordx4 v[10:11], v[6:9], off offset:3904
	ds_read_b128 v[6:9], v72 offset:16128
	s_movk_i32 s0, 0x3000
	v_add_co_u32_e32 v10, vcc, s0, v14
	v_addc_co_u32_e32 v11, vcc, 0, v15, vcc
	s_waitcnt lgkmcnt(1)
	global_store_dwordx4 v[10:11], v[2:5], off offset:1824
	ds_read_b128 v[2:5], v72 offset:18144
	s_waitcnt lgkmcnt(1)
	global_store_dwordx4 v[10:11], v[6:9], off offset:3840
	ds_read_b128 v[6:9], v72 offset:20160
	s_movk_i32 s0, 0x4000
	v_add_co_u32_e32 v10, vcc, s0, v14
	v_addc_co_u32_e32 v11, vcc, 0, v15, vcc
	s_waitcnt lgkmcnt(1)
	global_store_dwordx4 v[10:11], v[2:5], off offset:1760
	ds_read_b128 v[2:5], v72 offset:22176
	s_waitcnt lgkmcnt(1)
	global_store_dwordx4 v[10:11], v[6:9], off offset:3776
	ds_read_b128 v[6:9], v72 offset:24192
	v_add_co_u32_e32 v10, vcc, 0x5000, v14
	v_addc_co_u32_e32 v11, vcc, 0, v15, vcc
	s_waitcnt lgkmcnt(1)
	global_store_dwordx4 v[10:11], v[2:5], off offset:1696
	ds_read_b128 v[2:5], v72 offset:26208
	s_waitcnt lgkmcnt(1)
	global_store_dwordx4 v[10:11], v[6:9], off offset:3712
	s_movk_i32 s0, 0x7d
	v_add_co_u32_e32 v6, vcc, 0x6000, v14
	v_addc_co_u32_e32 v7, vcc, 0, v15, vcc
	v_cmp_eq_u32_e32 vcc, s0, v60
	s_waitcnt lgkmcnt(0)
	global_store_dwordx4 v[6:7], v[2:5], off offset:1632
	s_and_b64 exec, exec, vcc
	s_cbranch_execz .LBB0_28
; %bb.27:
	v_mov_b32_e32 v2, 0
	ds_read_b128 v[2:5], v2 offset:28224
	v_add_co_u32_e32 v6, vcc, 0x6000, v1
	v_addc_co_u32_e32 v7, vcc, 0, v0, vcc
	s_waitcnt lgkmcnt(0)
	global_store_dwordx4 v[6:7], v[2:5], off offset:3648
.LBB0_28:
	s_endpgm
	.section	.rodata,"a",@progbits
	.p2align	6, 0x0
	.amdhsa_kernel fft_rtc_fwd_len1764_factors_2_2_3_3_7_7_wgs_126_tpt_126_halfLds_dp_ip_CI_unitstride_sbrr_R2C_dirReg
		.amdhsa_group_segment_fixed_size 0
		.amdhsa_private_segment_fixed_size 0
		.amdhsa_kernarg_size 88
		.amdhsa_user_sgpr_count 6
		.amdhsa_user_sgpr_private_segment_buffer 1
		.amdhsa_user_sgpr_dispatch_ptr 0
		.amdhsa_user_sgpr_queue_ptr 0
		.amdhsa_user_sgpr_kernarg_segment_ptr 1
		.amdhsa_user_sgpr_dispatch_id 0
		.amdhsa_user_sgpr_flat_scratch_init 0
		.amdhsa_user_sgpr_private_segment_size 0
		.amdhsa_uses_dynamic_stack 0
		.amdhsa_system_sgpr_private_segment_wavefront_offset 0
		.amdhsa_system_sgpr_workgroup_id_x 1
		.amdhsa_system_sgpr_workgroup_id_y 0
		.amdhsa_system_sgpr_workgroup_id_z 0
		.amdhsa_system_sgpr_workgroup_info 0
		.amdhsa_system_vgpr_workitem_id 0
		.amdhsa_next_free_vgpr 119
		.amdhsa_next_free_sgpr 26
		.amdhsa_reserve_vcc 1
		.amdhsa_reserve_flat_scratch 0
		.amdhsa_float_round_mode_32 0
		.amdhsa_float_round_mode_16_64 0
		.amdhsa_float_denorm_mode_32 3
		.amdhsa_float_denorm_mode_16_64 3
		.amdhsa_dx10_clamp 1
		.amdhsa_ieee_mode 1
		.amdhsa_fp16_overflow 0
		.amdhsa_exception_fp_ieee_invalid_op 0
		.amdhsa_exception_fp_denorm_src 0
		.amdhsa_exception_fp_ieee_div_zero 0
		.amdhsa_exception_fp_ieee_overflow 0
		.amdhsa_exception_fp_ieee_underflow 0
		.amdhsa_exception_fp_ieee_inexact 0
		.amdhsa_exception_int_div_zero 0
	.end_amdhsa_kernel
	.text
.Lfunc_end0:
	.size	fft_rtc_fwd_len1764_factors_2_2_3_3_7_7_wgs_126_tpt_126_halfLds_dp_ip_CI_unitstride_sbrr_R2C_dirReg, .Lfunc_end0-fft_rtc_fwd_len1764_factors_2_2_3_3_7_7_wgs_126_tpt_126_halfLds_dp_ip_CI_unitstride_sbrr_R2C_dirReg
                                        ; -- End function
	.section	.AMDGPU.csdata,"",@progbits
; Kernel info:
; codeLenInByte = 12568
; NumSgprs: 30
; NumVgprs: 119
; ScratchSize: 0
; MemoryBound: 0
; FloatMode: 240
; IeeeMode: 1
; LDSByteSize: 0 bytes/workgroup (compile time only)
; SGPRBlocks: 3
; VGPRBlocks: 29
; NumSGPRsForWavesPerEU: 30
; NumVGPRsForWavesPerEU: 119
; Occupancy: 2
; WaveLimiterHint : 1
; COMPUTE_PGM_RSRC2:SCRATCH_EN: 0
; COMPUTE_PGM_RSRC2:USER_SGPR: 6
; COMPUTE_PGM_RSRC2:TRAP_HANDLER: 0
; COMPUTE_PGM_RSRC2:TGID_X_EN: 1
; COMPUTE_PGM_RSRC2:TGID_Y_EN: 0
; COMPUTE_PGM_RSRC2:TGID_Z_EN: 0
; COMPUTE_PGM_RSRC2:TIDIG_COMP_CNT: 0
	.type	__hip_cuid_aaf2a0a32aa7c7b3,@object ; @__hip_cuid_aaf2a0a32aa7c7b3
	.section	.bss,"aw",@nobits
	.globl	__hip_cuid_aaf2a0a32aa7c7b3
__hip_cuid_aaf2a0a32aa7c7b3:
	.byte	0                               ; 0x0
	.size	__hip_cuid_aaf2a0a32aa7c7b3, 1

	.ident	"AMD clang version 19.0.0git (https://github.com/RadeonOpenCompute/llvm-project roc-6.4.0 25133 c7fe45cf4b819c5991fe208aaa96edf142730f1d)"
	.section	".note.GNU-stack","",@progbits
	.addrsig
	.addrsig_sym __hip_cuid_aaf2a0a32aa7c7b3
	.amdgpu_metadata
---
amdhsa.kernels:
  - .args:
      - .actual_access:  read_only
        .address_space:  global
        .offset:         0
        .size:           8
        .value_kind:     global_buffer
      - .offset:         8
        .size:           8
        .value_kind:     by_value
      - .actual_access:  read_only
        .address_space:  global
        .offset:         16
        .size:           8
        .value_kind:     global_buffer
      - .actual_access:  read_only
        .address_space:  global
        .offset:         24
        .size:           8
        .value_kind:     global_buffer
      - .offset:         32
        .size:           8
        .value_kind:     by_value
      - .actual_access:  read_only
        .address_space:  global
        .offset:         40
        .size:           8
        .value_kind:     global_buffer
      - .actual_access:  read_only
        .address_space:  global
        .offset:         48
        .size:           8
        .value_kind:     global_buffer
      - .offset:         56
        .size:           4
        .value_kind:     by_value
      - .actual_access:  read_only
        .address_space:  global
        .offset:         64
        .size:           8
        .value_kind:     global_buffer
      - .actual_access:  read_only
        .address_space:  global
        .offset:         72
        .size:           8
        .value_kind:     global_buffer
      - .address_space:  global
        .offset:         80
        .size:           8
        .value_kind:     global_buffer
    .group_segment_fixed_size: 0
    .kernarg_segment_align: 8
    .kernarg_segment_size: 88
    .language:       OpenCL C
    .language_version:
      - 2
      - 0
    .max_flat_workgroup_size: 126
    .name:           fft_rtc_fwd_len1764_factors_2_2_3_3_7_7_wgs_126_tpt_126_halfLds_dp_ip_CI_unitstride_sbrr_R2C_dirReg
    .private_segment_fixed_size: 0
    .sgpr_count:     30
    .sgpr_spill_count: 0
    .symbol:         fft_rtc_fwd_len1764_factors_2_2_3_3_7_7_wgs_126_tpt_126_halfLds_dp_ip_CI_unitstride_sbrr_R2C_dirReg.kd
    .uniform_work_group_size: 1
    .uses_dynamic_stack: false
    .vgpr_count:     119
    .vgpr_spill_count: 0
    .wavefront_size: 64
amdhsa.target:   amdgcn-amd-amdhsa--gfx906
amdhsa.version:
  - 1
  - 2
...

	.end_amdgpu_metadata
